;; amdgpu-corpus repo=ROCm/rocFFT kind=compiled arch=gfx950 opt=O3
	.text
	.amdgcn_target "amdgcn-amd-amdhsa--gfx950"
	.amdhsa_code_object_version 6
	.protected	fft_rtc_fwd_len1365_factors_13_7_5_3_wgs_182_tpt_91_halfLds_half_op_CI_CI_sbrr_dirReg ; -- Begin function fft_rtc_fwd_len1365_factors_13_7_5_3_wgs_182_tpt_91_halfLds_half_op_CI_CI_sbrr_dirReg
	.globl	fft_rtc_fwd_len1365_factors_13_7_5_3_wgs_182_tpt_91_halfLds_half_op_CI_CI_sbrr_dirReg
	.p2align	8
	.type	fft_rtc_fwd_len1365_factors_13_7_5_3_wgs_182_tpt_91_halfLds_half_op_CI_CI_sbrr_dirReg,@function
fft_rtc_fwd_len1365_factors_13_7_5_3_wgs_182_tpt_91_halfLds_half_op_CI_CI_sbrr_dirReg: ; @fft_rtc_fwd_len1365_factors_13_7_5_3_wgs_182_tpt_91_halfLds_half_op_CI_CI_sbrr_dirReg
; %bb.0:
	s_load_dwordx4 s[12:15], s[0:1], 0x18
	s_load_dwordx4 s[8:11], s[0:1], 0x0
	;; [unrolled: 1-line block ×3, first 2 shown]
	v_mul_u32_u24_e32 v1, 0x2d1, v0
	v_lshrrev_b32_e32 v12, 16, v1
	s_waitcnt lgkmcnt(0)
	s_load_dwordx2 s[18:19], s[12:13], 0x0
	s_load_dwordx2 s[16:17], s[14:15], 0x0
	v_lshl_add_u32 v6, s2, 1, v12
	v_mov_b32_e32 v4, 0
	v_cmp_lt_u64_e64 s[2:3], s[10:11], 2
	v_mov_b32_e32 v7, v4
	s_and_b64 vcc, exec, s[2:3]
	v_mov_b64_e32 v[2:3], 0
	s_cbranch_vccnz .LBB0_8
; %bb.1:
	s_load_dwordx2 s[2:3], s[0:1], 0x10
	s_add_u32 s20, s14, 8
	s_addc_u32 s21, s15, 0
	s_add_u32 s22, s12, 8
	s_addc_u32 s23, s13, 0
	s_waitcnt lgkmcnt(0)
	s_add_u32 s24, s2, 8
	v_mov_b64_e32 v[2:3], 0
	s_addc_u32 s25, s3, 0
	s_mov_b64 s[26:27], 1
	v_mov_b64_e32 v[8:9], v[2:3]
.LBB0_2:                                ; =>This Inner Loop Header: Depth=1
	s_load_dwordx2 s[28:29], s[24:25], 0x0
                                        ; implicit-def: $vgpr10_vgpr11
	s_waitcnt lgkmcnt(0)
	v_or_b32_e32 v5, s29, v7
	v_cmp_ne_u64_e32 vcc, 0, v[4:5]
	s_and_saveexec_b64 s[2:3], vcc
	s_xor_b64 s[30:31], exec, s[2:3]
	s_cbranch_execz .LBB0_4
; %bb.3:                                ;   in Loop: Header=BB0_2 Depth=1
	v_cvt_f32_u32_e32 v1, s28
	v_cvt_f32_u32_e32 v5, s29
	s_sub_u32 s2, 0, s28
	s_subb_u32 s3, 0, s29
	v_fmac_f32_e32 v1, 0x4f800000, v5
	v_rcp_f32_e32 v1, v1
	s_nop 0
	v_mul_f32_e32 v1, 0x5f7ffffc, v1
	v_mul_f32_e32 v5, 0x2f800000, v1
	v_trunc_f32_e32 v5, v5
	v_fmac_f32_e32 v1, 0xcf800000, v5
	v_cvt_u32_f32_e32 v5, v5
	v_cvt_u32_f32_e32 v1, v1
	v_mul_lo_u32 v10, s2, v5
	v_mul_hi_u32 v13, s2, v1
	v_mul_lo_u32 v11, s3, v1
	v_add_u32_e32 v13, v13, v10
	v_mul_lo_u32 v16, s2, v1
	v_add_u32_e32 v13, v13, v11
	v_mul_hi_u32 v10, v1, v16
	v_mul_hi_u32 v15, v1, v13
	v_mul_lo_u32 v14, v1, v13
	v_mov_b32_e32 v11, v4
	v_lshl_add_u64 v[10:11], v[10:11], 0, v[14:15]
	v_mul_hi_u32 v15, v5, v16
	v_mul_lo_u32 v16, v5, v16
	v_add_co_u32_e32 v10, vcc, v10, v16
	v_mul_hi_u32 v14, v5, v13
	s_nop 0
	v_addc_co_u32_e32 v10, vcc, v11, v15, vcc
	v_mov_b32_e32 v11, v4
	s_nop 0
	v_addc_co_u32_e32 v15, vcc, 0, v14, vcc
	v_mul_lo_u32 v14, v5, v13
	v_lshl_add_u64 v[10:11], v[10:11], 0, v[14:15]
	v_add_co_u32_e32 v1, vcc, v1, v10
	v_mul_lo_u32 v14, s2, v1
	s_nop 0
	v_addc_co_u32_e32 v5, vcc, v5, v11, vcc
	v_mul_lo_u32 v10, s2, v5
	v_mul_hi_u32 v11, s2, v1
	v_add_u32_e32 v10, v11, v10
	v_mul_lo_u32 v11, s3, v1
	v_add_u32_e32 v13, v10, v11
	v_mul_hi_u32 v17, v5, v14
	v_mul_lo_u32 v18, v5, v14
	v_mul_hi_u32 v11, v1, v13
	v_mul_lo_u32 v10, v1, v13
	v_mul_hi_u32 v14, v1, v14
	v_mov_b32_e32 v15, v4
	v_lshl_add_u64 v[10:11], v[14:15], 0, v[10:11]
	v_add_co_u32_e32 v10, vcc, v10, v18
	v_mul_hi_u32 v16, v5, v13
	s_nop 0
	v_addc_co_u32_e32 v10, vcc, v11, v17, vcc
	v_mul_lo_u32 v14, v5, v13
	s_nop 0
	v_addc_co_u32_e32 v15, vcc, 0, v16, vcc
	v_mov_b32_e32 v11, v4
	v_lshl_add_u64 v[10:11], v[10:11], 0, v[14:15]
	v_add_co_u32_e32 v1, vcc, v1, v10
	v_mul_hi_u32 v14, v6, v1
	s_nop 0
	v_addc_co_u32_e32 v5, vcc, v5, v11, vcc
	v_mad_u64_u32 v[10:11], s[2:3], v6, v5, 0
	v_mov_b32_e32 v15, v4
	v_lshl_add_u64 v[10:11], v[14:15], 0, v[10:11]
	v_mad_u64_u32 v[16:17], s[2:3], v7, v1, 0
	v_add_co_u32_e32 v1, vcc, v10, v16
	v_mad_u64_u32 v[14:15], s[2:3], v7, v5, 0
	s_nop 0
	v_addc_co_u32_e32 v10, vcc, v11, v17, vcc
	v_mov_b32_e32 v11, v4
	s_nop 0
	v_addc_co_u32_e32 v15, vcc, 0, v15, vcc
	v_lshl_add_u64 v[10:11], v[10:11], 0, v[14:15]
	v_mul_lo_u32 v1, s29, v10
	v_mul_lo_u32 v5, s28, v11
	v_mad_u64_u32 v[14:15], s[2:3], s28, v10, 0
	v_add3_u32 v1, v15, v5, v1
	v_sub_u32_e32 v5, v7, v1
	v_mov_b32_e32 v13, s29
	v_sub_co_u32_e32 v18, vcc, v6, v14
	v_lshl_add_u64 v[16:17], v[10:11], 0, 1
	s_nop 0
	v_subb_co_u32_e64 v5, s[2:3], v5, v13, vcc
	v_subrev_co_u32_e64 v13, s[2:3], s28, v18
	v_subb_co_u32_e32 v1, vcc, v7, v1, vcc
	s_nop 0
	v_subbrev_co_u32_e64 v5, s[2:3], 0, v5, s[2:3]
	v_cmp_le_u32_e64 s[2:3], s29, v5
	v_cmp_le_u32_e32 vcc, s29, v1
	s_nop 0
	v_cndmask_b32_e64 v14, 0, -1, s[2:3]
	v_cmp_le_u32_e64 s[2:3], s28, v13
	s_nop 1
	v_cndmask_b32_e64 v13, 0, -1, s[2:3]
	v_cmp_eq_u32_e64 s[2:3], s29, v5
	s_nop 1
	v_cndmask_b32_e64 v5, v14, v13, s[2:3]
	v_lshl_add_u64 v[14:15], v[10:11], 0, 2
	v_cmp_ne_u32_e64 s[2:3], 0, v5
	v_cndmask_b32_e64 v13, 0, -1, vcc
	v_cmp_le_u32_e32 vcc, s28, v18
	v_cndmask_b32_e64 v5, v17, v15, s[2:3]
	s_nop 0
	v_cndmask_b32_e64 v15, 0, -1, vcc
	v_cmp_eq_u32_e32 vcc, s29, v1
	s_nop 1
	v_cndmask_b32_e32 v1, v13, v15, vcc
	v_cmp_ne_u32_e32 vcc, 0, v1
	v_cndmask_b32_e64 v1, v16, v14, s[2:3]
	s_nop 0
	v_cndmask_b32_e32 v11, v11, v5, vcc
	v_cndmask_b32_e32 v10, v10, v1, vcc
.LBB0_4:                                ;   in Loop: Header=BB0_2 Depth=1
	s_andn2_saveexec_b64 s[2:3], s[30:31]
	s_cbranch_execz .LBB0_6
; %bb.5:                                ;   in Loop: Header=BB0_2 Depth=1
	v_cvt_f32_u32_e32 v1, s28
	s_sub_i32 s30, 0, s28
	v_rcp_iflag_f32_e32 v1, v1
	s_nop 0
	v_mul_f32_e32 v1, 0x4f7ffffe, v1
	v_cvt_u32_f32_e32 v1, v1
	v_mul_lo_u32 v5, s30, v1
	v_mul_hi_u32 v5, v1, v5
	v_add_u32_e32 v1, v1, v5
	v_mul_hi_u32 v1, v6, v1
	v_mul_lo_u32 v5, v1, s28
	v_sub_u32_e32 v5, v6, v5
	v_add_u32_e32 v10, 1, v1
	v_subrev_u32_e32 v11, s28, v5
	v_cmp_le_u32_e32 vcc, s28, v5
	s_nop 1
	v_cndmask_b32_e32 v5, v5, v11, vcc
	v_cndmask_b32_e32 v1, v1, v10, vcc
	v_add_u32_e32 v10, 1, v1
	v_cmp_le_u32_e32 vcc, s28, v5
	v_mov_b32_e32 v11, v4
	s_nop 0
	v_cndmask_b32_e32 v10, v1, v10, vcc
.LBB0_6:                                ;   in Loop: Header=BB0_2 Depth=1
	s_or_b64 exec, exec, s[2:3]
	v_mad_u64_u32 v[14:15], s[2:3], v10, s28, 0
	s_load_dwordx2 s[2:3], s[22:23], 0x0
	v_mul_lo_u32 v1, v11, s28
	v_mul_lo_u32 v5, v10, s29
	s_load_dwordx2 s[28:29], s[20:21], 0x0
	s_add_u32 s26, s26, 1
	v_add3_u32 v1, v15, v5, v1
	v_sub_co_u32_e32 v5, vcc, v6, v14
	s_addc_u32 s27, s27, 0
	s_nop 0
	v_subb_co_u32_e32 v1, vcc, v7, v1, vcc
	s_add_u32 s20, s20, 8
	s_waitcnt lgkmcnt(0)
	v_mul_lo_u32 v6, s2, v1
	v_mul_lo_u32 v7, s3, v5
	v_mad_u64_u32 v[2:3], s[2:3], s2, v5, v[2:3]
	s_addc_u32 s21, s21, 0
	v_add3_u32 v3, v7, v3, v6
	v_mul_lo_u32 v1, s28, v1
	v_mul_lo_u32 v6, s29, v5
	v_mad_u64_u32 v[8:9], s[2:3], s28, v5, v[8:9]
	s_add_u32 s22, s22, 8
	v_add3_u32 v9, v6, v9, v1
	s_addc_u32 s23, s23, 0
	v_mov_b64_e32 v[6:7], s[10:11]
	s_add_u32 s24, s24, 8
	v_cmp_ge_u64_e32 vcc, s[26:27], v[6:7]
	s_addc_u32 s25, s25, 0
	s_cbranch_vccnz .LBB0_9
; %bb.7:                                ;   in Loop: Header=BB0_2 Depth=1
	v_mov_b64_e32 v[6:7], v[10:11]
	s_branch .LBB0_2
.LBB0_8:
	v_mov_b64_e32 v[8:9], v[2:3]
	v_mov_b64_e32 v[10:11], v[6:7]
.LBB0_9:
	s_load_dwordx2 s[0:1], s[0:1], 0x28
	s_lshl_b64 s[20:21], s[10:11], 3
	s_add_u32 s10, s14, s20
	s_addc_u32 s11, s15, s21
                                        ; implicit-def: $sgpr14
                                        ; implicit-def: $vgpr7
	s_waitcnt lgkmcnt(0)
	v_cmp_gt_u64_e32 vcc, s[0:1], v[10:11]
	v_cmp_le_u64_e64 s[0:1], s[0:1], v[10:11]
	s_and_saveexec_b64 s[2:3], s[0:1]
	s_xor_b64 s[0:1], exec, s[2:3]
; %bb.10:
	s_mov_b32 s2, 0x2d02d03
	v_mul_hi_u32 v1, v0, s2
	v_mul_u32_u24_e32 v1, 0x5b, v1
	v_sub_u32_e32 v7, v0, v1
	s_mov_b32 s14, 0
                                        ; implicit-def: $vgpr0
                                        ; implicit-def: $vgpr2_vgpr3
; %bb.11:
	s_or_saveexec_b64 s[2:3], s[0:1]
	s_load_dwordx2 s[10:11], s[10:11], 0x0
	v_mov_b32_e32 v6, s14
	v_mov_b32_e32 v14, s14
                                        ; implicit-def: $vgpr1
                                        ; implicit-def: $vgpr13
                                        ; implicit-def: $vgpr58
                                        ; implicit-def: $vgpr31
                                        ; implicit-def: $vgpr56
                                        ; implicit-def: $vgpr30
                                        ; implicit-def: $vgpr55
                                        ; implicit-def: $vgpr29
                                        ; implicit-def: $vgpr53
                                        ; implicit-def: $vgpr27
                                        ; implicit-def: $vgpr52
                                        ; implicit-def: $vgpr15
                                        ; implicit-def: $vgpr50
                                        ; implicit-def: $vgpr4
                                        ; implicit-def: $vgpr51
                                        ; implicit-def: $vgpr5
                                        ; implicit-def: $vgpr54
                                        ; implicit-def: $vgpr32
                                        ; implicit-def: $vgpr57
                                        ; implicit-def: $vgpr33
                                        ; implicit-def: $vgpr59
                                        ; implicit-def: $vgpr41
                                        ; implicit-def: $vgpr16
                                        ; implicit-def: $vgpr40
                                        ; implicit-def: $vgpr17
                                        ; implicit-def: $vgpr39
                                        ; implicit-def: $vgpr18
                                        ; implicit-def: $vgpr38
                                        ; implicit-def: $vgpr19
                                        ; implicit-def: $vgpr37
                                        ; implicit-def: $vgpr20
                                        ; implicit-def: $vgpr35
                                        ; implicit-def: $vgpr21
                                        ; implicit-def: $vgpr34
                                        ; implicit-def: $vgpr28
                                        ; implicit-def: $vgpr47
                                        ; implicit-def: $vgpr22
                                        ; implicit-def: $vgpr46
                                        ; implicit-def: $vgpr23
                                        ; implicit-def: $vgpr45
                                        ; implicit-def: $vgpr24
                                        ; implicit-def: $vgpr44
                                        ; implicit-def: $vgpr25
                                        ; implicit-def: $vgpr42
                                        ; implicit-def: $vgpr26
                                        ; implicit-def: $vgpr36
                                        ; implicit-def: $vgpr61
                                        ; implicit-def: $vgpr48
                                        ; implicit-def: $vgpr60
                                        ; implicit-def: $vgpr43
	s_xor_b64 exec, exec, s[2:3]
	s_cbranch_execz .LBB0_15
; %bb.12:
	s_add_u32 s0, s12, s20
	s_addc_u32 s1, s13, s21
	s_load_dwordx2 s[0:1], s[0:1], 0x0
	s_mov_b32 s12, 0x2d02d03
                                        ; implicit-def: $vgpr36
                                        ; implicit-def: $vgpr26
                                        ; implicit-def: $vgpr42
                                        ; implicit-def: $vgpr44
                                        ; implicit-def: $vgpr45
                                        ; implicit-def: $vgpr46
                                        ; implicit-def: $vgpr47
                                        ; implicit-def: $vgpr28
                                        ; implicit-def: $vgpr37
                                        ; implicit-def: $vgpr38
                                        ; implicit-def: $vgpr39
                                        ; implicit-def: $vgpr40
	s_waitcnt lgkmcnt(0)
	v_mul_lo_u32 v1, s1, v10
	v_mul_lo_u32 v6, s0, v11
	v_mad_u64_u32 v[4:5], s[0:1], s0, v10, 0
	v_add3_u32 v5, v5, v6, v1
	v_mul_hi_u32 v1, v0, s12
	v_mul_u32_u24_e32 v1, 0x5b, v1
	v_sub_u32_e32 v7, v0, v1
	v_mad_u64_u32 v[14:15], s[0:1], s18, v7, 0
	v_mov_b32_e32 v0, v15
	v_mad_u64_u32 v[0:1], s[0:1], s19, v7, v[0:1]
	v_add_u32_e32 v13, 0x69, v7
	v_mov_b32_e32 v15, v0
	v_lshl_add_u64 v[0:1], v[4:5], 2, s[4:5]
	v_mad_u64_u32 v[4:5], s[0:1], s18, v13, 0
	v_lshl_add_u64 v[0:1], v[2:3], 2, v[0:1]
	v_mov_b32_e32 v6, v5
	v_lshl_add_u64 v[2:3], v[14:15], 2, v[0:1]
	v_mad_u64_u32 v[14:15], s[0:1], s19, v13, v[6:7]
	v_mov_b32_e32 v5, v14
	v_add_u32_e32 v13, 0xd2, v7
	v_lshl_add_u64 v[16:17], v[4:5], 2, v[0:1]
	v_mad_u64_u32 v[4:5], s[0:1], s18, v13, 0
	v_mov_b32_e32 v6, v5
	v_mad_u64_u32 v[14:15], s[0:1], s19, v13, v[6:7]
	v_mov_b32_e32 v5, v14
	v_add_u32_e32 v13, 0x13b, v7
	v_lshl_add_u64 v[18:19], v[4:5], 2, v[0:1]
	v_mad_u64_u32 v[4:5], s[0:1], s18, v13, 0
	v_mov_b32_e32 v6, v5
	;; [unrolled: 6-line block ×6, first 2 shown]
	v_mad_u64_u32 v[14:15], s[0:1], s19, v13, v[6:7]
	v_mov_b32_e32 v5, v14
	v_add_u32_e32 v14, 0x348, v7
	v_lshl_add_u64 v[34:35], v[4:5], 2, v[0:1]
	global_load_dword v13, v[2:3], off
	global_load_dword v31, v[16:17], off
	;; [unrolled: 1-line block ×8, first 2 shown]
	v_mad_u64_u32 v[2:3], s[0:1], s18, v14, 0
	v_mov_b32_e32 v6, v3
	v_mad_u64_u32 v[16:17], s[0:1], s19, v14, v[6:7]
	v_add_u32_e32 v14, 0x3b1, v7
	v_mov_b32_e32 v3, v16
	v_mad_u64_u32 v[16:17], s[0:1], s18, v14, 0
	v_mov_b32_e32 v6, v17
	v_mad_u64_u32 v[18:19], s[0:1], s19, v14, v[6:7]
	v_add_u32_e32 v14, 0x41a, v7
	v_mov_b32_e32 v17, v18
	;; [unrolled: 5-line block ×4, first 2 shown]
	v_mad_u64_u32 v[22:23], s[0:1], s18, v14, 0
	v_mov_b32_e32 v6, v23
	v_mad_u64_u32 v[24:25], s[0:1], s19, v14, v[6:7]
	v_lshl_add_u64 v[2:3], v[2:3], 2, v[0:1]
	v_mov_b32_e32 v23, v24
	v_lshl_add_u64 v[16:17], v[16:17], 2, v[0:1]
	v_lshl_add_u64 v[18:19], v[18:19], 2, v[0:1]
	;; [unrolled: 1-line block ×4, first 2 shown]
	global_load_dword v32, v[2:3], off
	global_load_dword v33, v[16:17], off
	;; [unrolled: 1-line block ×5, first 2 shown]
	v_cmp_gt_u32_e64 s[0:1], 14, v7
	v_mov_b32_e32 v14, 0
	v_mov_b32_e32 v6, 0
                                        ; implicit-def: $vgpr25
                                        ; implicit-def: $vgpr24
                                        ; implicit-def: $vgpr23
                                        ; implicit-def: $vgpr22
                                        ; implicit-def: $vgpr34
                                        ; implicit-def: $vgpr21
                                        ; implicit-def: $vgpr35
                                        ; implicit-def: $vgpr20
                                        ; implicit-def: $vgpr19
                                        ; implicit-def: $vgpr18
                                        ; implicit-def: $vgpr17
                                        ; implicit-def: $vgpr16
	s_and_saveexec_b64 s[4:5], s[0:1]
	s_cbranch_execz .LBB0_14
; %bb.13:
	v_add_u32_e32 v14, 0x5b, v7
	v_mad_u64_u32 v[2:3], s[0:1], s18, v14, 0
	v_mov_b32_e32 v6, v3
	v_mad_u64_u32 v[16:17], s[0:1], s19, v14, v[6:7]
	v_add_u32_e32 v14, 0xc4, v7
	v_mov_b32_e32 v3, v16
	v_mad_u64_u32 v[16:17], s[0:1], s18, v14, 0
	v_mov_b32_e32 v6, v17
	v_mad_u64_u32 v[18:19], s[0:1], s19, v14, v[6:7]
	v_add_u32_e32 v14, 0x12d, v7
	v_mov_b32_e32 v17, v18
	;; [unrolled: 5-line block ×6, first 2 shown]
	v_mad_u64_u32 v[34:35], s[0:1], s18, v14, 0
	v_mov_b32_e32 v6, v35
	v_mad_u64_u32 v[36:37], s[0:1], s19, v14, v[6:7]
	v_mov_b32_e32 v35, v36
	v_add_u32_e32 v14, 0x33a, v7
	v_lshl_add_u64 v[44:45], v[34:35], 2, v[0:1]
	v_mad_u64_u32 v[34:35], s[0:1], s18, v14, 0
	v_mov_b32_e32 v6, v35
	v_mad_u64_u32 v[36:37], s[0:1], s19, v14, v[6:7]
	v_lshl_add_u64 v[2:3], v[2:3], 2, v[0:1]
	v_lshl_add_u64 v[16:17], v[16:17], 2, v[0:1]
	v_mov_b32_e32 v35, v36
	v_lshl_add_u64 v[18:19], v[18:19], 2, v[0:1]
	v_lshl_add_u64 v[20:21], v[20:21], 2, v[0:1]
	;; [unrolled: 1-line block ×5, first 2 shown]
	global_load_dword v14, v[2:3], off
	global_load_dword v40, v[16:17], off
	;; [unrolled: 1-line block ×8, first 2 shown]
	v_add_u32_e32 v16, 0x3a3, v7
	v_mad_u64_u32 v[2:3], s[0:1], s18, v16, 0
	v_mov_b32_e32 v6, v3
	v_mad_u64_u32 v[16:17], s[0:1], s19, v16, v[6:7]
	v_add_u32_e32 v18, 0x40c, v7
	v_mov_b32_e32 v3, v16
	v_mad_u64_u32 v[16:17], s[0:1], s18, v18, 0
	v_mov_b32_e32 v6, v17
	v_mad_u64_u32 v[18:19], s[0:1], s19, v18, v[6:7]
	v_add_u32_e32 v20, 0x475, v7
	v_mov_b32_e32 v17, v18
	;; [unrolled: 5-line block ×4, first 2 shown]
	v_mad_u64_u32 v[22:23], s[0:1], s18, v24, 0
	v_mov_b32_e32 v6, v23
	v_mad_u64_u32 v[24:25], s[0:1], s19, v24, v[6:7]
	v_lshl_add_u64 v[2:3], v[2:3], 2, v[0:1]
	v_mov_b32_e32 v23, v24
	v_lshl_add_u64 v[16:17], v[16:17], 2, v[0:1]
	v_lshl_add_u64 v[18:19], v[18:19], 2, v[0:1]
	;; [unrolled: 1-line block ×4, first 2 shown]
	global_load_dword v42, v[2:3], off
	global_load_dword v44, v[16:17], off
	global_load_dword v45, v[18:19], off
	global_load_dword v46, v[20:21], off
	global_load_dword v47, v[0:1], off
	s_waitcnt vmcnt(12)
	v_lshrrev_b32_e32 v6, 16, v14
	s_waitcnt vmcnt(11)
	v_lshrrev_b32_e32 v16, 16, v40
	;; [unrolled: 2-line block ×13, first 2 shown]
.LBB0_14:
	s_or_b64 exec, exec, s[4:5]
	s_waitcnt vmcnt(12)
	v_lshrrev_b32_e32 v1, 16, v13
	s_waitcnt vmcnt(11)
	v_lshrrev_b32_e32 v58, 16, v31
	s_waitcnt vmcnt(10)
	v_lshrrev_b32_e32 v56, 16, v30
	s_waitcnt vmcnt(9)
	v_lshrrev_b32_e32 v55, 16, v29
	s_waitcnt vmcnt(8)
	v_lshrrev_b32_e32 v53, 16, v27
	s_waitcnt vmcnt(7)
	v_lshrrev_b32_e32 v52, 16, v15
	s_waitcnt vmcnt(6)
	v_lshrrev_b32_e32 v50, 16, v4
	s_waitcnt vmcnt(5)
	v_lshrrev_b32_e32 v51, 16, v5
	s_waitcnt vmcnt(4)
	v_lshrrev_b32_e32 v54, 16, v32
	s_waitcnt vmcnt(3)
	v_lshrrev_b32_e32 v57, 16, v33
	s_waitcnt vmcnt(2)
	v_lshrrev_b32_e32 v60, 16, v43
	s_waitcnt vmcnt(1)
	v_lshrrev_b32_e32 v59, 16, v41
	s_waitcnt vmcnt(0)
	v_lshrrev_b32_e32 v61, 16, v48
.LBB0_15:
	s_or_b64 exec, exec, s[2:3]
	v_sub_f16_e32 v49, v58, v61
	v_add_f16_e32 v3, v48, v31
	s_movk_i32 s18, 0x2fb7
	v_mul_f16_e32 v65, 0xbbf1, v49
	v_sub_f16_e32 v68, v56, v59
	v_fma_f16 v0, v3, s18, -v65
	s_mov_b32 s19, 0xbbc4
	v_add_f16_e32 v67, v30, v41
	v_mul_f16_e32 v69, 0xb3a8, v68
	v_sub_f16_e32 v71, v55, v60
	v_add_f16_e32 v0, v0, v13
	v_fma_f16 v2, v67, s19, -v69
	v_add_f16_e32 v70, v43, v29
	s_mov_b32 s20, 0xb5ac
	v_mul_f16_e32 v72, 0x3b7b, v71
	v_sub_f16_e32 v74, v53, v57
	v_add_f16_e32 v0, v2, v0
	v_fma_f16 v2, v70, s20, -v72
	s_movk_i32 s21, 0x3b15
	v_add_f16_e32 v73, v27, v33
	v_mul_f16_e32 v75, 0x3770, v74
	v_sub_f16_e32 v77, v52, v54
	v_add_f16_e32 v0, v0, v2
	v_fma_f16 v2, v73, s21, -v75
	s_movk_i32 s22, 0x388b
	v_add_f16_e32 v76, v15, v32
	v_mul_f16_e32 v78, 0xba95, v77
	v_sub_f16_e32 v80, v50, v51
	v_add_f16_e32 v0, v2, v0
	v_fma_f16 v2, v76, s22, -v78
	s_mov_b32 s23, 0xb9fd
	v_add_f16_e32 v79, v4, v5
	v_mul_f16_e32 v81, 0xb94e, v80
	s_mov_b32 s2, 0xba95b770
	v_add_f16_e32 v0, v2, v0
	v_fma_f16 v2, v79, s23, -v81
	s_mov_b32 s4, 0x388b3b15
	s_mov_b32 s3, 0xbb7bba95
	v_pk_mul_f16 v88, v49, s2 op_sel_hi:[0,1]
	v_add_f16_e32 v0, v2, v0
	s_mov_b32 s5, 0xb5ac388b
	v_pk_fma_f16 v2, v3, s4, v88 op_sel_hi:[0,1,1] neg_lo:[0,0,1] neg_hi:[0,0,1]
	v_pk_mul_f16 v89, v68, s3 op_sel_hi:[0,1]
	s_mov_b32 s24, 0xb3a8bbf1
	v_pk_add_f16 v2, v2, v13 op_sel_hi:[1,0]
	v_pk_fma_f16 v62, v67, s5, v89 op_sel_hi:[0,1,1] neg_lo:[0,0,1] neg_hi:[0,0,1]
	s_mov_b32 s12, 0xbbc42fb7
	v_pk_mul_f16 v90, v71, s24 op_sel_hi:[0,1]
	s_mov_b32 s25, 0x394ebb7b
	v_pk_add_f16 v2, v62, v2
	v_pk_fma_f16 v62, v70, s12, v90 op_sel_hi:[0,1,1] neg_lo:[0,0,1] neg_hi:[0,0,1]
	s_mov_b32 s13, 0xb9fdb5ac
	v_pk_mul_f16 v91, v74, s25 op_sel_hi:[0,1]
	s_mov_b32 s26, 0x3bf1b94e
	v_pk_add_f16 v2, v2, v62
	;; [unrolled: 5-line block ×4, first 2 shown]
	v_pk_fma_f16 v62, v79, s15, v93 op_sel_hi:[0,1,1] neg_lo:[0,0,1] neg_hi:[0,0,1]
	v_pk_mul_f16 v82, v49, s0 op_sel_hi:[0,1]
	s_mov_b32 s0, 0x3bf1394e
	v_pk_add_f16 v2, v62, v2
	v_pk_fma_f16 v62, v3, s13, v82 op_sel_hi:[0,1,1] neg_lo:[0,0,1] neg_hi:[0,0,1]
	v_pk_mul_f16 v83, v68, s0 op_sel_hi:[0,1]
	s_mov_b32 s0, 0xba953770
	v_pk_add_f16 v62, v62, v13 op_sel_hi:[1,0]
	v_pk_fma_f16 v63, v67, s14, v83 op_sel_hi:[0,1,1] neg_lo:[0,0,1] neg_hi:[0,0,1]
	v_pk_mul_f16 v84, v71, s0 op_sel_hi:[0,1]
	s_mov_b32 s0, 0x33a8bbf1
	v_pk_add_f16 v62, v63, v62
	v_pk_fma_f16 v63, v70, s4, v84 op_sel_hi:[0,1,1] neg_lo:[0,0,1] neg_hi:[0,0,1]
	v_pk_mul_f16 v85, v74, s0 op_sel_hi:[0,1]
	s_mov_b32 s0, 0x377033a8
	v_pk_add_f16 v62, v62, v63
	;; [unrolled: 4-line block ×3, first 2 shown]
	v_pk_fma_f16 v63, v76, s15, v86 op_sel_hi:[0,1,1] neg_lo:[0,0,1] neg_hi:[0,0,1]
	v_pk_mul_f16 v87, v80, s0 op_sel_hi:[0,1]
	v_pk_add_f16 v62, v63, v62
	v_pk_fma_f16 v63, v79, s5, v87 op_sel_hi:[0,1,1] neg_lo:[0,0,1] neg_hi:[0,0,1]
	v_pk_add_f16 v64, v63, v62
	v_alignbit_b32 v63, v0, v2, 16
	v_add_f16_e32 v0, v13, v31
	v_add_f16_e32 v0, v0, v30
	;; [unrolled: 1-line block ×12, first 2 shown]
	v_pack_b32_f16 v62, v0, v2
	v_and_b32_e32 v0, 1, v12
	v_mov_b32_e32 v2, 0x555
	v_cmp_eq_u32_e64 s[0:1], 1, v0
	v_mad_u32_u24 v0, v7, 26, 0
	v_mul_f16_e32 v12, 0xb3a8, v49
	v_cndmask_b32_e64 v2, 0, v2, s[0:1]
	v_lshl_add_u32 v66, v2, 1, v0
	ds_write_b96 v66, v[62:64]
	v_fma_f16 v49, v3, s19, -v12
	v_mul_f16_e32 v62, 0x3770, v68
	v_add_f16_e32 v49, v49, v13
	v_fma_f16 v63, v67, s21, -v62
	v_add_f16_e32 v49, v63, v49
	v_mul_f16_e32 v63, 0xb94e, v71
	v_fma_f16 v64, v70, s23, -v63
	v_add_f16_e32 v49, v49, v64
	v_mul_f16_e32 v64, 0x3a95, v74
	;; [unrolled: 3-line block ×4, first 2 shown]
	v_fma_f16 v74, v79, s18, -v71
	v_add_f16_e32 v49, v74, v49
	v_pk_mul_f16 v74, v3, s13 op_sel_hi:[0,1]
	s_mov_b32 s0, 0xffff
	v_add_f16_e32 v77, v82, v74
	v_bfi_b32 v12, s0, v12, v82
	v_mul_f16_e32 v82, 0xbbc4, v3
	v_bfi_b32 v74, s0, v82, v74
	v_pk_mul_f16 v80, v67, s14 op_sel_hi:[0,1]
	v_pk_add_f16 v12, v12, v74
	v_mul_f16_e32 v74, 0x3b15, v67
	v_bfi_b32 v62, s0, v62, v83
	v_bfi_b32 v74, s0, v74, v80
	v_add_f16_e32 v77, v77, v13
	v_add_f16_e32 v94, v83, v80
	v_pk_add_f16 v62, v62, v74
	v_pk_add_f16 v12, v12, v13 op_sel_hi:[1,0]
	v_add_f16_e32 v77, v94, v77
	v_pk_mul_f16 v94, v70, s4 op_sel_hi:[0,1]
	v_pk_add_f16 v12, v62, v12
	v_bfi_b32 v62, s0, v63, v84
	v_mul_f16_e32 v63, 0xb9fd, v70
	v_add_f16_e32 v95, v84, v94
	v_bfi_b32 v63, s0, v63, v94
	v_add_f16_e32 v77, v77, v95
	v_pk_mul_f16 v95, v73, s12 op_sel_hi:[0,1]
	v_pk_add_f16 v62, v62, v63
	v_mul_f16_e32 v63, 0x388b, v73
	v_add_f16_e32 v96, v85, v95
	v_pk_add_f16 v12, v12, v62
	v_bfi_b32 v62, s0, v64, v85
	v_bfi_b32 v63, s0, v63, v95
	v_add_f16_e32 v77, v96, v77
	v_pk_mul_f16 v96, v76, s15 op_sel_hi:[0,1]
	v_pk_add_f16 v62, v62, v63
	v_mul_f16_e32 v63, 0xb5ac, v76
	v_add_f16_e32 v97, v86, v96
	v_pk_add_f16 v12, v62, v12
	v_bfi_b32 v62, s0, v68, v86
	v_bfi_b32 v63, s0, v63, v96
	v_add_f16_e32 v77, v97, v77
	v_pk_mul_f16 v97, v79, s5 op_sel_hi:[0,1]
	v_pk_add_f16 v62, v62, v63
	v_mul_f16_e32 v63, 0x2fb7, v79
	v_pk_add_f16 v12, v62, v12
	v_bfi_b32 v62, s0, v71, v87
	v_bfi_b32 v63, s0, v63, v97
	v_pk_add_f16 v62, v62, v63
	v_pk_mul_f16 v94, v3, s4 op_sel_hi:[0,1]
	v_pk_add_f16 v12, v62, v12
	v_mul_f16_e32 v62, 0x2fb7, v3
	v_bfi_b32 v3, s0, v65, v88
	v_bfi_b32 v62, s0, v62, v94
	v_pk_add_f16 v3, v3, v62
	v_mul_f16_e32 v62, 0xbbc4, v67
	v_pk_mul_f16 v95, v67, s5 op_sel_hi:[0,1]
	v_bfi_b32 v63, s0, v69, v89
	v_bfi_b32 v62, s0, v62, v95
	v_pk_add_f16 v62, v63, v62
	v_pk_add_f16 v3, v3, v13 op_sel_hi:[1,0]
	v_pk_mul_f16 v96, v70, s12 op_sel_hi:[0,1]
	v_pk_add_f16 v3, v62, v3
	v_mul_f16_e32 v62, 0xb5ac, v70
	v_bfi_b32 v63, s0, v72, v90
	v_bfi_b32 v62, s0, v62, v96
	v_pk_add_f16 v62, v63, v62
	v_add_f16_e32 v98, v87, v97
	v_pk_add_f16 v3, v3, v62
	v_mul_f16_e32 v62, 0x3b15, v73
	v_pk_mul_f16 v97, v73, s13 op_sel_hi:[0,1]
	v_bfi_b32 v63, s0, v75, v91
	v_bfi_b32 v62, s0, v62, v97
	v_pk_add_f16 v62, v63, v62
	v_add_f16_e32 v77, v98, v77
	v_pk_add_f16 v3, v62, v3
	v_mul_f16_e32 v62, 0x388b, v76
	v_pk_mul_f16 v98, v76, s14 op_sel_hi:[0,1]
	v_bfi_b32 v63, s0, v78, v92
	v_bfi_b32 v62, s0, v62, v98
	v_pk_add_f16 v62, v63, v62
	v_pk_mul_f16 v99, v79, s15 op_sel_hi:[0,1]
	v_pk_add_f16 v3, v62, v3
	v_mul_f16_e32 v62, 0xb9fd, v79
	v_bfi_b32 v63, s0, v81, v93
	v_bfi_b32 v62, s0, v62, v99
	v_pk_add_f16 v62, v63, v62
	v_alignbit_b32 v63, v77, v12, 16
	v_pk_add_f16 v64, v62, v3
	v_pack_b32_f16 v62, v49, v12
	ds_write_b96 v66, v[62:64] offset:12
	v_sub_f16_e32 v63, v16, v28
	v_add_f16_e32 v75, v40, v47
	v_pk_mul_f16 v3, v63, s2 op_sel_hi:[0,1]
	v_pk_fma_f16 v12, v75, s4, v3 op_sel_hi:[0,1,1] neg_lo:[0,0,1] neg_hi:[0,0,1]
	v_sub_f16_e32 v64, v17, v22
	v_pk_add_f16 v49, v14, v12 op_sel_hi:[0,1]
	v_add_f16_e32 v77, v39, v46
	v_pk_mul_f16 v12, v64, s3 op_sel_hi:[0,1]
	v_sub_f16_e32 v84, v18, v23
	v_pk_fma_f16 v62, v77, s5, v12 op_sel_hi:[0,1,1] neg_lo:[0,0,1] neg_hi:[0,0,1]
	v_add_f16_e32 v78, v38, v45
	v_pk_mul_f16 v65, v84, s24 op_sel_hi:[0,1]
	v_sub_f16_e32 v85, v19, v24
	v_pk_add_f16 v49, v49, v62
	v_pk_fma_f16 v62, v78, s12, v65 op_sel_hi:[0,1,1] neg_lo:[0,0,1] neg_hi:[0,0,1]
	v_add_f16_e32 v79, v37, v44
	v_pk_mul_f16 v67, v85, s25 op_sel_hi:[0,1]
	v_sub_f16_e32 v86, v20, v25
	v_pk_add_f16 v49, v49, v62
	;; [unrolled: 5-line block ×3, first 2 shown]
	v_pk_fma_f16 v62, v80, s14, v68 op_sel_hi:[0,1,1] neg_lo:[0,0,1] neg_hi:[0,0,1]
	v_add_f16_e32 v81, v34, v36
	v_pk_mul_f16 v69, v87, s27 op_sel_hi:[0,1]
	s_mov_b32 s0, 0xbb7bbbf1
	v_pk_add_f16 v49, v49, v62
	v_pk_fma_f16 v62, v81, s15, v69 op_sel_hi:[0,1,1] neg_lo:[0,0,1] neg_hi:[0,0,1]
	s_mov_b32 s18, 0xb5ac2fb7
	v_pk_mul_f16 v70, v63, s0 op_sel_hi:[0,1]
	s_mov_b32 s0, 0x394eb3a8
	v_pk_add_f16 v49, v49, v62
	v_pk_fma_f16 v62, v75, s18, v70 op_sel_hi:[0,1,1] neg_lo:[0,0,1] neg_hi:[0,0,1]
	s_mov_b32 s19, 0xb9fdbbc4
	v_pk_mul_f16 v71, v64, s0 op_sel_hi:[0,1]
	v_pk_add_f16 v62, v14, v62 op_sel_hi:[0,1]
	v_pk_fma_f16 v72, v77, s19, v71 op_sel_hi:[0,1,1] neg_lo:[0,0,1] neg_hi:[0,0,1]
	s_mov_b32 s0, 0x37703b7b
	v_pk_add_f16 v62, v62, v72
	s_mov_b32 s20, 0x3b15b5ac
	v_pk_mul_f16 v72, v84, s0 op_sel_hi:[0,1]
	v_pk_fma_f16 v73, v78, s20, v72 op_sel_hi:[0,1,1] neg_lo:[0,0,1] neg_hi:[0,0,1]
	s_mov_b32 s0, 0xbbf13770
	v_pk_add_f16 v62, v62, v73
	s_mov_b32 s21, 0x2fb73b15
	v_pk_mul_f16 v73, v85, s0 op_sel_hi:[0,1]
	;; [unrolled: 5-line block ×5, first 2 shown]
	v_pk_fma_f16 v83, v63, s1, v82 op_sel_hi:[0,1,1] neg_lo:[1,0,0] neg_hi:[1,0,0]
	s_mov_b32 s0, 0x3b152fb7
	v_pk_fma_f16 v82, v63, s1, v82 op_sel_hi:[0,1,1]
	v_pk_add_f16 v63, v14, v83 op_sel_hi:[0,1]
	s_mov_b32 s1, 0x37703bf1
	v_pk_mul_f16 v83, v77, s0 op_sel_hi:[0,1]
	s_mov_b32 s0, 0xb9fd388b
	v_pk_fma_f16 v100, v64, s1, v83 op_sel_hi:[0,1,1] neg_lo:[1,0,0] neg_hi:[1,0,0]
	v_pk_fma_f16 v83, v64, s1, v83 op_sel_hi:[0,1,1]
	s_mov_b32 s1, 0xb94eba95
	v_pk_mul_f16 v64, v78, s0 op_sel_hi:[0,1]
	s_mov_b32 s0, 0x388bbbc4
	v_pk_add_f16 v63, v63, v100
	v_pk_fma_f16 v100, v84, s1, v64 op_sel_hi:[0,1,1] neg_lo:[1,0,0] neg_hi:[1,0,0]
	v_pk_fma_f16 v84, v84, s1, v64 op_sel_hi:[0,1,1]
	s_mov_b32 s1, 0x3a9533a8
	v_pk_mul_f16 v64, v79, s0 op_sel_hi:[0,1]
	s_mov_b32 s0, 0xb5ac3b15
	v_pk_add_f16 v63, v63, v100
	;; [unrolled: 6-line block ×3, first 2 shown]
	v_pk_fma_f16 v100, v86, s1, v64 op_sel_hi:[0,1,1] neg_lo:[1,0,0] neg_hi:[1,0,0]
	v_pk_fma_f16 v86, v86, s1, v64 op_sel_hi:[0,1,1]
	s_mov_b32 s1, 0x3bf1bb7b
	v_pk_mul_f16 v64, v81, s0 op_sel_hi:[0,1]
	v_pk_add_f16 v63, v63, v100
	v_pk_fma_f16 v100, v87, s1, v64 op_sel_hi:[0,1,1] neg_lo:[1,0,0] neg_hi:[1,0,0]
	v_pk_fma_f16 v87, v87, s1, v64 op_sel_hi:[0,1,1]
	v_add_f16_e32 v64, v88, v94
	v_add_f16_e32 v13, v64, v13
	;; [unrolled: 1-line block ×12, first 2 shown]
	ds_write_b16 v66, v13 offset:24
	v_add_f16_sdwa v13, v14, v82 dst_sel:DWORD dst_unused:UNUSED_PAD src0_sel:DWORD src1_sel:WORD_1
	v_add_f16_sdwa v13, v13, v83 dst_sel:DWORD dst_unused:UNUSED_PAD src0_sel:DWORD src1_sel:WORD_1
	v_add_f16_sdwa v13, v13, v84 dst_sel:DWORD dst_unused:UNUSED_PAD src0_sel:DWORD src1_sel:WORD_1
	v_add_f16_sdwa v13, v13, v85 dst_sel:DWORD dst_unused:UNUSED_PAD src0_sel:DWORD src1_sel:WORD_1
	v_add_f16_sdwa v13, v13, v86 dst_sel:DWORD dst_unused:UNUSED_PAD src0_sel:DWORD src1_sel:WORD_1
	v_pk_add_f16 v63, v63, v100
	v_add_f16_sdwa v64, v13, v87 dst_sel:DWORD dst_unused:UNUSED_PAD src0_sel:DWORD src1_sel:WORD_1
	v_cmp_gt_u32_e64 s[2:3], 14, v7
	s_and_saveexec_b64 s[0:1], s[2:3]
	s_cbranch_execz .LBB0_17
; %bb.16:
	v_pk_mul_f16 v89, v78, s12 op_sel_hi:[0,1]
	v_pk_mul_f16 v93, v78, s20 op_sel_hi:[0,1]
	v_add_f16_e32 v78, v14, v40
	v_add_f16_e32 v78, v78, v39
	;; [unrolled: 1-line block ×5, first 2 shown]
	v_pk_mul_f16 v13, v75, s4 op_sel_hi:[0,1]
	v_pk_mul_f16 v75, v75, s18 op_sel_hi:[0,1]
	v_add_f16_e32 v78, v78, v34
	v_pk_mul_f16 v88, v77, s5 op_sel_hi:[0,1]
	v_pk_mul_f16 v77, v77, s19 op_sel_hi:[0,1]
	v_add_f16_e32 v78, v78, v36
	v_pk_add_f16 v3, v3, v13 op_sel:[1,1] op_sel_hi:[0,0]
	v_pk_add_f16 v13, v70, v75 op_sel:[1,1] op_sel_hi:[0,0]
	v_pk_mul_f16 v90, v79, s13 op_sel_hi:[0,1]
	v_pk_mul_f16 v94, v79, s21 op_sel_hi:[0,1]
	v_add_f16_e32 v78, v42, v78
	v_add_f16_e32 v79, v14, v82
	v_pk_add_f16 v13, v14, v13 op_sel_hi:[0,1]
	v_pk_add_f16 v3, v14, v3 op_sel_hi:[0,1]
	v_pk_add_f16 v14, v71, v77 op_sel:[1,1] op_sel_hi:[0,0]
	v_pk_add_f16 v12, v12, v88 op_sel:[1,1] op_sel_hi:[0,0]
	v_add_f16_e32 v78, v44, v78
	v_add_f16_e32 v79, v79, v83
	v_pk_add_f16 v3, v3, v12
	v_pk_add_f16 v12, v13, v14
	v_pk_add_f16 v13, v65, v89 op_sel:[1,1] op_sel_hi:[0,0]
	v_pk_add_f16 v14, v72, v93 op_sel:[1,1] op_sel_hi:[0,0]
	v_pk_mul_f16 v91, v80, s14 op_sel_hi:[0,1]
	v_pk_mul_f16 v95, v80, s22 op_sel_hi:[0,1]
	v_add_f16_e32 v78, v45, v78
	v_add_f16_e32 v79, v79, v84
	v_pk_add_f16 v12, v12, v14
	v_pk_add_f16 v3, v3, v13
	v_pk_add_f16 v13, v73, v94 op_sel:[1,1] op_sel_hi:[0,0]
	v_pk_add_f16 v14, v67, v90 op_sel:[1,1] op_sel_hi:[0,0]
	v_pk_mul_f16 v92, v81, s15 op_sel_hi:[0,1]
	v_pk_mul_f16 v96, v81, s23 op_sel_hi:[0,1]
	v_add_f16_e32 v78, v46, v78
	v_add_f16_e32 v79, v79, v85
	v_pk_add_f16 v3, v3, v14
	v_pk_add_f16 v12, v12, v13
	v_pk_add_f16 v13, v68, v91 op_sel:[1,1] op_sel_hi:[0,0]
	v_pk_add_f16 v14, v74, v95 op_sel:[1,1] op_sel_hi:[0,0]
	v_add_f16_e32 v78, v47, v78
	v_add_f16_e32 v79, v79, v86
	s_mov_b32 s4, 0x5040100
	v_pk_add_f16 v12, v12, v14
	v_pk_add_f16 v3, v3, v13
	v_pk_add_f16 v14, v76, v96 op_sel:[1,1] op_sel_hi:[0,0]
	v_pk_add_f16 v13, v69, v92 op_sel:[1,1] op_sel_hi:[0,0]
	v_add_f16_e32 v82, v79, v87
	v_perm_b32 v78, v49, v78, s4
	v_alignbit_b32 v81, v64, v63, 16
	v_alignbit_b32 v80, v63, v62, 16
	;; [unrolled: 1-line block ×3, first 2 shown]
	v_pk_add_f16 v13, v3, v13
	v_pk_add_f16 v12, v12, v14
	ds_write_b128 v66, v[78:81] offset:2366
	ds_write_b16 v66, v82 offset:2382
	ds_write_b64 v66, v[12:13] offset:2384
.LBB0_17:
	s_or_b64 exec, exec, s[0:1]
	v_lshlrev_b32_e32 v13, 1, v2
	v_lshlrev_b32_e32 v12, 1, v7
	v_mul_i32_i24_e32 v2, 0xffffffe8, v7
	v_add3_u32 v3, 0, v13, v12
	v_add3_u32 v14, v0, v2, v13
	s_waitcnt lgkmcnt(0)
	s_barrier
	ds_read_u16 v67, v3
	ds_read_u16 v70, v14 offset:1560
	ds_read_u16 v68, v14 offset:1352
	;; [unrolled: 1-line block ×13, first 2 shown]
	v_cmp_gt_u32_e64 s[0:1], 13, v7
	s_and_saveexec_b64 s[4:5], s[0:1]
	s_cbranch_execz .LBB0_19
; %bb.18:
	ds_read_u16 v0, v14 offset:364
	ds_read_u16 v2, v14 offset:754
	;; [unrolled: 1-line block ×7, first 2 shown]
	s_mov_b32 s12, 0x5040100
	s_waitcnt lgkmcnt(5)
	v_perm_b32 v49, v2, v0, s12
	s_waitcnt lgkmcnt(3)
	v_perm_b32 v62, v63, v62, s12
	;; [unrolled: 2-line block ×3, first 2 shown]
.LBB0_19:
	s_or_b64 exec, exec, s[4:5]
	v_add_f16_e32 v0, v1, v58
	v_add_f16_e32 v0, v0, v56
	;; [unrolled: 1-line block ×11, first 2 shown]
	v_sub_f16_e32 v2, v31, v48
	v_add_f16_e32 v80, v61, v0
	v_add_f16_e32 v0, v61, v58
	s_movk_i32 s4, 0x2fb7
	v_mul_f16_e32 v48, 0xbbf1, v2
	v_sub_f16_e32 v30, v30, v41
	v_fma_f16 v58, v0, s4, v48
	s_mov_b32 s5, 0xbbc4
	v_add_f16_e32 v56, v56, v59
	v_mul_f16_e32 v59, 0xb3a8, v30
	v_add_f16_e32 v58, v58, v1
	v_mul_f16_e32 v61, 0xb3a8, v2
	v_fma_f16 v82, v56, s5, v59
	v_fma_f16 v81, v0, s5, v61
	v_fma_f16 v61, v0, s5, -v61
	v_add_f16_e32 v58, v82, v58
	v_mul_f16_e32 v82, 0x3770, v30
	s_movk_i32 s5, 0x3b15
	v_sub_f16_e32 v29, v29, v43
	v_add_f16_e32 v61, v61, v1
	v_fma_f16 v83, v56, s5, v82
	v_fma_f16 v82, v56, s5, -v82
	v_add_f16_e32 v55, v60, v55
	s_mov_b32 s12, 0xb5ac
	v_mul_f16_e32 v60, 0x3b7b, v29
	v_add_f16_e32 v61, v82, v61
	v_fma_f16 v82, v55, s12, v60
	v_add_f16_e32 v81, v81, v1
	v_add_f16_e32 v58, v58, v82
	v_mul_f16_e32 v82, 0xb94e, v29
	s_mov_b32 s20, 0xb9fd
	v_sub_f16_e32 v27, v27, v33
	v_add_f16_e32 v81, v83, v81
	v_fma_f16 v83, v55, s20, v82
	v_fma_f16 v82, v55, s20, -v82
	v_add_f16_e32 v53, v53, v57
	v_mul_f16_e32 v57, 0x3770, v27
	v_add_f16_e32 v61, v61, v82
	v_fma_f16 v82, v53, s5, v57
	v_add_f16_e32 v58, v82, v58
	v_mul_f16_e32 v82, 0x3a95, v27
	s_movk_i32 s5, 0x388b
	v_sub_f16_e32 v15, v15, v32
	v_add_f16_e32 v81, v81, v83
	v_fma_f16 v83, v53, s5, v82
	v_fma_f16 v82, v53, s5, -v82
	v_add_f16_e32 v54, v52, v54
	v_mul_f16_e32 v52, 0xba95, v15
	v_add_f16_e32 v61, v82, v61
	v_fma_f16 v82, v54, s5, v52
	v_add_f16_e32 v58, v82, v58
	v_mul_f16_e32 v82, 0xbb7b, v15
	v_add_f16_e32 v81, v83, v81
	v_fma_f16 v83, v54, s12, v82
	v_fma_f16 v82, v54, s12, -v82
	s_mov_b32 s12, 0x388b3b15
	s_mov_b32 s5, 0xba95b770
	v_add_f16_e32 v50, v50, v51
	v_sub_f16_e32 v4, v4, v5
	v_pk_mul_f16 v5, v0, s12 op_sel_hi:[0,1]
	v_pk_mul_f16 v51, v2, s5 op_sel_hi:[0,1]
	s_mov_b32 s13, 0xb5ac388b
	s_mov_b32 s21, 0xbb7bba95
	v_add_f16_e32 v61, v82, v61
	v_sub_f16_e32 v82, v5, v51
	v_pk_mul_f16 v84, v56, s13 op_sel_hi:[0,1]
	v_pk_mul_f16 v85, v30, s21 op_sel_hi:[0,1]
	v_add_f16_e32 v81, v83, v81
	v_add_f16_e32 v82, v82, v1
	v_pk_fma_f16 v83, v0, s12, v51 op_sel_hi:[0,1,1]
	v_sub_f16_e32 v86, v84, v85
	v_pk_add_f16 v83, v83, v1 op_sel_hi:[1,0]
	v_add_f16_e32 v82, v86, v82
	v_pk_fma_f16 v86, v56, s13, v85 op_sel_hi:[0,1,1]
	s_mov_b32 s14, 0xbbc42fb7
	s_mov_b32 s22, 0xb3a8bbf1
	v_pk_add_f16 v83, v86, v83
	v_pk_mul_f16 v86, v55, s14 op_sel_hi:[0,1]
	v_pk_mul_f16 v87, v29, s22 op_sel_hi:[0,1]
	v_sub_f16_e32 v88, v86, v87
	v_add_f16_e32 v82, v82, v88
	v_pk_fma_f16 v88, v55, s14, v87 op_sel_hi:[0,1,1]
	s_mov_b32 s15, 0xb9fdb5ac
	s_mov_b32 s23, 0x394ebb7b
	v_pk_add_f16 v83, v83, v88
	v_pk_mul_f16 v88, v53, s15 op_sel_hi:[0,1]
	v_pk_mul_f16 v89, v27, s23 op_sel_hi:[0,1]
	v_sub_f16_e32 v90, v88, v89
	;; [unrolled: 8-line block ×4, first 2 shown]
	v_add_f16_e32 v82, v95, v82
	v_mul_f16_e32 v95, 0xb94e, v4
	v_mul_f16_e32 v31, 0x2fb7, v0
	v_fma_f16 v96, v50, s20, v95
	s_mov_b32 s20, 0xffff
	v_mul_f16_e32 v41, 0xbbc4, v56
	v_bfi_b32 v5, s20, v31, v5
	v_bfi_b32 v31, s20, v48, v51
	v_pk_add_f16 v5, v5, v31 neg_lo:[0,1] neg_hi:[0,1]
	v_bfi_b32 v31, s20, v41, v84
	v_bfi_b32 v41, s20, v59, v85
	v_mul_f16_e32 v43, 0xb5ac, v55
	v_pk_add_f16 v5, v5, v1 op_sel_hi:[1,0]
	v_pk_add_f16 v31, v31, v41 neg_lo:[0,1] neg_hi:[0,1]
	v_bfi_b32 v41, s20, v60, v87
	v_pk_add_f16 v5, v31, v5
	v_bfi_b32 v31, s20, v43, v86
	v_mul_f16_e32 v33, 0x3b15, v53
	v_pk_add_f16 v31, v31, v41 neg_lo:[0,1] neg_hi:[0,1]
	v_mul_f16_e32 v32, 0x388b, v54
	v_pk_add_f16 v5, v5, v31
	v_bfi_b32 v31, s20, v33, v88
	v_bfi_b32 v33, s20, v57, v89
	v_pk_add_f16 v31, v31, v33 neg_lo:[0,1] neg_hi:[0,1]
	v_pk_fma_f16 v94, v50, s19, v93 op_sel_hi:[0,1,1]
	v_pk_add_f16 v5, v31, v5
	v_bfi_b32 v31, s20, v32, v90
	v_bfi_b32 v32, s20, v52, v91
	v_pk_add_f16 v83, v94, v83
	v_mul_f16_e32 v94, 0xb9fd, v50
	v_pk_add_f16 v31, v31, v32 neg_lo:[0,1] neg_hi:[0,1]
	v_bfi_b32 v32, s20, v95, v93
	v_pk_add_f16 v5, v31, v5
	v_bfi_b32 v31, s20, v94, v92
	s_mov_b32 s20, 0xb94ebb7b
	v_pk_add_f16 v31, v31, v32 neg_lo:[0,1] neg_hi:[0,1]
	v_pk_mul_f16 v2, v2, s20 op_sel_hi:[0,1]
	s_mov_b32 s20, 0x3bf1394e
	v_pk_add_f16 v43, v31, v5
	v_pk_fma_f16 v5, v0, s15, v2 op_sel_hi:[0,1,1]
	v_pk_mul_f16 v30, v30, s20 op_sel_hi:[0,1]
	s_mov_b32 s20, 0xba953770
	v_pk_add_f16 v5, v5, v1 op_sel_hi:[1,0]
	v_pk_fma_f16 v31, v56, s18, v30 op_sel_hi:[0,1,1]
	v_pk_mul_f16 v29, v29, s20 op_sel_hi:[0,1]
	s_mov_b32 s20, 0x33a8bbf1
	v_pk_fma_f16 v0, v0, s15, v2 op_sel_hi:[0,1,1] neg_lo:[0,0,1] neg_hi:[0,0,1]
	v_pk_add_f16 v5, v31, v5
	v_pk_fma_f16 v31, v55, s12, v29 op_sel_hi:[0,1,1]
	v_pk_mul_f16 v27, v27, s20 op_sel_hi:[0,1]
	s_mov_b32 s20, 0x377033a8
	v_pk_add_f16 v0, v0, v1 op_sel_hi:[1,0]
	v_pk_fma_f16 v1, v56, s18, v30 op_sel_hi:[0,1,1] neg_lo:[0,0,1] neg_hi:[0,0,1]
	v_pk_add_f16 v5, v5, v31
	v_pk_fma_f16 v31, v53, s14, v27 op_sel_hi:[0,1,1]
	v_pk_mul_f16 v15, v15, s20 op_sel_hi:[0,1]
	v_pk_add_f16 v0, v1, v0
	v_pk_fma_f16 v1, v55, s12, v29 op_sel_hi:[0,1,1] neg_lo:[0,0,1] neg_hi:[0,0,1]
	v_pk_add_f16 v5, v31, v5
	v_pk_fma_f16 v31, v54, s19, v15 op_sel_hi:[0,1,1]
	s_mov_b32 s20, 0xbb7b3a95
	v_pk_add_f16 v0, v0, v1
	v_pk_fma_f16 v1, v53, s14, v27 op_sel_hi:[0,1,1] neg_lo:[0,0,1] neg_hi:[0,0,1]
	v_pk_add_f16 v5, v31, v5
	v_pk_mul_f16 v31, v4, s20 op_sel_hi:[0,1]
	v_pk_add_f16 v0, v1, v0
	v_pk_fma_f16 v1, v54, s19, v15 op_sel_hi:[0,1,1] neg_lo:[0,0,1] neg_hi:[0,0,1]
	v_pk_add_f16 v0, v1, v0
	v_pk_fma_f16 v1, v50, s13, v31 op_sel_hi:[0,1,1] neg_lo:[0,0,1] neg_hi:[0,0,1]
	v_pk_add_f16 v48, v1, v0
	v_mul_f16_e32 v0, 0x3bf1, v4
	v_sub_f16_e32 v2, v40, v47
	v_pk_fma_f16 v32, v50, s13, v31 op_sel_hi:[0,1,1]
	v_fma_f16 v1, v50, s4, v0
	v_fma_f16 v0, v50, s4, -v0
	v_add_f16_e32 v41, v16, v28
	v_sub_f16_e32 v4, v39, v46
	v_pk_mul_f16 v27, v2, s5 op_sel_hi:[0,1]
	v_pk_add_f16 v52, v32, v5
	v_add_f16_e32 v50, v0, v61
	v_add_f16_e32 v40, v17, v22
	v_sub_f16_e32 v5, v38, v45
	v_pk_fma_f16 v0, v41, s12, v27 op_sel_hi:[0,1,1]
	v_pk_mul_f16 v29, v4, s21 op_sel_hi:[0,1]
	v_add_f16_e32 v51, v1, v81
	v_add_f16_e32 v39, v18, v23
	v_sub_f16_e32 v15, v37, v44
	v_pk_add_f16 v0, v6, v0 op_sel_hi:[0,1]
	v_pk_fma_f16 v1, v40, s13, v29 op_sel_hi:[0,1,1]
	v_pk_mul_f16 v30, v5, s22 op_sel_hi:[0,1]
	v_add_f16_e32 v38, v19, v24
	v_sub_f16_e32 v42, v35, v42
	v_pk_add_f16 v0, v0, v1
	v_pk_fma_f16 v1, v39, s14, v30 op_sel_hi:[0,1,1]
	v_pk_mul_f16 v31, v15, s23 op_sel_hi:[0,1]
	v_add_f16_e32 v37, v20, v25
	v_sub_f16_e32 v34, v34, v36
	v_pk_add_f16 v0, v0, v1
	v_pk_fma_f16 v1, v38, s15, v31 op_sel_hi:[0,1,1]
	v_pk_mul_f16 v32, v42, s24 op_sel_hi:[0,1]
	v_add_f16_e32 v35, v21, v26
	v_pk_add_f16 v0, v0, v1
	v_pk_fma_f16 v1, v37, s18, v32 op_sel_hi:[0,1,1]
	v_pk_mul_f16 v33, v34, s25 op_sel_hi:[0,1]
	s_mov_b32 s5, 0xbb7bbbf1
	v_pk_add_f16 v0, v0, v1
	v_pk_fma_f16 v1, v35, s19, v33 op_sel_hi:[0,1,1]
	s_mov_b32 s4, 0xb5ac2fb7
	v_pk_mul_f16 v44, v2, s5 op_sel_hi:[0,1]
	s_mov_b32 s5, 0x394eb3a8
	v_pk_add_f16 v0, v0, v1
	v_pk_mul_f16 v36, v41, s4 op_sel_hi:[0,1]
	v_pk_fma_f16 v1, v41, s4, v44 op_sel_hi:[0,1,1]
	s_mov_b32 s4, 0xb9fdbbc4
	v_pk_mul_f16 v46, v4, s5 op_sel_hi:[0,1]
	s_mov_b32 s5, 0x37703b7b
	v_pk_add_f16 v1, v6, v1 op_sel_hi:[0,1]
	v_pk_mul_f16 v45, v40, s4 op_sel_hi:[0,1]
	v_pk_fma_f16 v47, v40, s4, v46 op_sel_hi:[0,1,1]
	s_mov_b32 s4, 0x3b15b5ac
	v_pk_mul_f16 v53, v5, s5 op_sel_hi:[0,1]
	s_mov_b32 s5, 0xbbf13770
	v_pk_add_f16 v1, v1, v47
	v_pk_mul_f16 v47, v39, s4 op_sel_hi:[0,1]
	v_pk_fma_f16 v54, v39, s4, v53 op_sel_hi:[0,1,1]
	s_mov_b32 s4, 0x2fb73b15
	v_pk_mul_f16 v55, v15, s5 op_sel_hi:[0,1]
	s_mov_b32 s5, 0x33a8ba95
	v_pk_add_f16 v1, v1, v54
	;; [unrolled: 6-line block ×5, first 2 shown]
	v_pk_mul_f16 v61, v41, s4 op_sel_hi:[0,1]
	v_pk_fma_f16 v2, v41, s4, v81 op_sel_hi:[0,1,1]
	s_mov_b32 s4, 0x3b152fb7
	v_pk_mul_f16 v4, v4, s5 op_sel_hi:[0,1]
	s_mov_b32 s5, 0xb94eba95
	v_pk_add_f16 v2, v6, v2 op_sel_hi:[0,1]
	v_pk_mul_f16 v84, v40, s4 op_sel_hi:[0,1]
	v_pk_fma_f16 v85, v40, s4, v4 op_sel_hi:[0,1,1]
	s_mov_b32 s4, 0xb9fd388b
	v_pk_mul_f16 v5, v5, s5 op_sel_hi:[0,1]
	s_mov_b32 s5, 0x3a9533a8
	v_pk_add_f16 v36, v36, v44 op_sel:[1,1] op_sel_hi:[0,0] neg_lo:[0,1] neg_hi:[0,1]
	v_pk_add_f16 v44, v61, v81 op_sel:[1,1] op_sel_hi:[0,0] neg_lo:[0,1] neg_hi:[0,1]
	v_pk_add_f16 v2, v2, v85
	v_pk_mul_f16 v85, v39, s4 op_sel_hi:[0,1]
	v_pk_fma_f16 v86, v39, s4, v5 op_sel_hi:[0,1,1]
	s_mov_b32 s4, 0x388bbbc4
	v_pk_mul_f16 v15, v15, s5 op_sel_hi:[0,1]
	s_mov_b32 s5, 0xbb7b3770
	v_pk_add_f16 v44, v6, v44 op_sel_hi:[0,1]
	v_pk_add_f16 v36, v6, v36 op_sel_hi:[0,1]
	v_pk_add_f16 v4, v84, v4 op_sel:[1,1] op_sel_hi:[0,0] neg_lo:[0,1] neg_hi:[0,1]
	v_pk_add_f16 v45, v45, v46 op_sel:[1,1] op_sel_hi:[0,0] neg_lo:[0,1] neg_hi:[0,1]
	v_pk_add_f16 v2, v2, v86
	v_pk_mul_f16 v86, v38, s4 op_sel_hi:[0,1]
	v_pk_fma_f16 v87, v38, s4, v15 op_sel_hi:[0,1,1]
	s_mov_b32 s4, 0xb5ac3b15
	v_pk_mul_f16 v42, v42, s5 op_sel_hi:[0,1]
	v_pk_add_f16 v36, v36, v45
	v_pk_add_f16 v4, v44, v4
	v_pk_add_f16 v44, v47, v53 op_sel:[1,1] op_sel_hi:[0,0] neg_lo:[0,1] neg_hi:[0,1]
	v_pk_add_f16 v5, v85, v5 op_sel:[1,1] op_sel_hi:[0,0] neg_lo:[0,1] neg_hi:[0,1]
	v_pk_add_f16 v2, v2, v87
	v_pk_mul_f16 v87, v37, s4 op_sel_hi:[0,1]
	v_pk_fma_f16 v88, v37, s4, v42 op_sel_hi:[0,1,1]
	s_mov_b32 s4, 0x2fb7b5ac
	s_mov_b32 s5, 0x3bf1bb7b
	v_pk_add_f16 v4, v4, v5
	v_pk_add_f16 v5, v36, v44
	v_pk_add_f16 v15, v86, v15 op_sel:[1,1] op_sel_hi:[0,0] neg_lo:[0,1] neg_hi:[0,1]
	v_pk_add_f16 v36, v54, v55 op_sel:[1,1] op_sel_hi:[0,0] neg_lo:[0,1] neg_hi:[0,1]
	v_pk_add_f16 v2, v2, v88
	v_pk_mul_f16 v88, v35, s4 op_sel_hi:[0,1]
	v_pk_mul_f16 v34, v34, s5 op_sel_hi:[0,1]
	v_pk_add_f16 v5, v5, v36
	v_pk_add_f16 v4, v4, v15
	v_pk_add_f16 v15, v56, v57 op_sel:[1,1] op_sel_hi:[0,0] neg_lo:[0,1] neg_hi:[0,1]
	v_pk_add_f16 v36, v87, v42 op_sel:[1,1] op_sel_hi:[0,0] neg_lo:[0,1] neg_hi:[0,1]
	v_add_f16_e32 v58, v96, v58
	v_pk_fma_f16 v89, v35, s4, v34 op_sel_hi:[0,1,1]
	v_pk_add_f16 v4, v4, v36
	v_pk_add_f16 v5, v5, v15
	v_pk_add_f16 v15, v88, v34 op_sel:[1,1] op_sel_hi:[0,0] neg_lo:[0,1] neg_hi:[0,1]
	v_pk_add_f16 v34, v59, v60 op_sel:[1,1] op_sel_hi:[0,0] neg_lo:[0,1] neg_hi:[0,1]
	v_pk_add_f16 v2, v2, v89
	v_pk_add_f16 v5, v5, v34
	;; [unrolled: 1-line block ×3, first 2 shown]
	v_add_u32_e32 v15, 0x5b, v7
	v_pack_b32_f16 v53, v51, v50
	v_alignbit_b32 v51, v58, v83, 16
	v_pack_b32_f16 v50, v80, v83
	v_alignbit_b32 v42, v48, v48, 16
	s_waitcnt lgkmcnt(0)
	s_barrier
	ds_write_b128 v66, v[50:53]
	ds_write_b64 v66, v[42:43] offset:16
	ds_write_b16 v66, v82 offset:24
	s_and_saveexec_b64 s[4:5], s[2:3]
	s_cbranch_execz .LBB0_21
; %bb.20:
	s_mov_b32 s2, 0x5040100
	v_perm_b32 v36, v6, v6, s2
	v_add_f16_e32 v6, v6, v16
	v_add_f16_e32 v6, v6, v17
	;; [unrolled: 1-line block ×3, first 2 shown]
	v_pk_mul_f16 v34, v41, s12 op_sel_hi:[0,1]
	v_add_f16_e32 v6, v6, v19
	v_pk_mul_f16 v40, v40, s13 op_sel_hi:[0,1]
	v_add_f16_e32 v6, v6, v20
	v_pk_add_f16 v16, v34, v27 neg_lo:[0,1] neg_hi:[0,1]
	v_pk_mul_f16 v39, v39, s14 op_sel_hi:[0,1]
	v_add_f16_e32 v6, v6, v21
	v_pk_add_f16 v16, v36, v16
	v_pk_add_f16 v17, v40, v29 neg_lo:[0,1] neg_hi:[0,1]
	v_pk_mul_f16 v38, v38, s15 op_sel_hi:[0,1]
	v_add_f16_e32 v6, v6, v26
	v_pk_add_f16 v16, v16, v17
	;; [unrolled: 4-line block ×4, first 2 shown]
	v_pk_add_f16 v17, v37, v32 neg_lo:[0,1] neg_hi:[0,1]
	v_add_f16_e32 v6, v23, v6
	v_pk_add_f16 v16, v16, v17
	v_pk_add_f16 v17, v35, v33 neg_lo:[0,1] neg_hi:[0,1]
	v_add_f16_e32 v6, v22, v6
	v_pk_add_f16 v16, v16, v17
	v_mul_u32_u24_e32 v17, 26, v15
	v_add_f16_e32 v6, v28, v6
	v_add3_u32 v17, 0, v17, v13
	ds_write_b16 v17, v6
	ds_write_b96 v17, v[0:2] offset:2
	v_alignbit_b32 v6, v16, v16, 16
	ds_write_b96 v17, v[4:6] offset:14
.LBB0_21:
	s_or_b64 exec, exec, s[4:5]
	s_waitcnt lgkmcnt(0)
	s_barrier
	ds_read_u16 v16, v3
	ds_read_u16 v19, v14 offset:1560
	ds_read_u16 v17, v14 offset:1352
	ds_read_u16 v24, v14 offset:1170
	ds_read_u16 v20, v14 offset:962
	ds_read_u16 v26, v14 offset:780
	ds_read_u16 v22, v14 offset:572
	ds_read_u16 v28, v14 offset:390
	ds_read_u16 v6, v14 offset:182
	ds_read_u16 v18, v14 offset:2522
	ds_read_u16 v25, v14 offset:2340
	ds_read_u16 v21, v14 offset:2132
	ds_read_u16 v27, v14 offset:1950
	ds_read_u16 v23, v14 offset:1742
	s_and_saveexec_b64 s[2:3], s[0:1]
	s_cbranch_execz .LBB0_23
; %bb.22:
	ds_read_u16 v0, v14 offset:364
	ds_read_u16 v1, v14 offset:754
	;; [unrolled: 1-line block ×7, first 2 shown]
	s_mov_b32 s4, 0x5040100
	s_waitcnt lgkmcnt(5)
	v_perm_b32 v0, v1, v0, s4
	s_waitcnt lgkmcnt(3)
	v_perm_b32 v1, v5, v2, s4
	;; [unrolled: 2-line block ×3, first 2 shown]
.LBB0_23:
	s_or_b64 exec, exec, s[2:3]
	s_movk_i32 s2, 0x4f
	v_mul_lo_u16_sdwa v5, v7, s2 dst_sel:DWORD dst_unused:UNUSED_PAD src0_sel:BYTE_0 src1_sel:DWORD
	v_lshrrev_b16_e32 v66, 10, v5
	v_mul_lo_u16_sdwa v34, v15, s2 dst_sel:DWORD dst_unused:UNUSED_PAD src0_sel:BYTE_0 src1_sel:DWORD
	v_mul_lo_u16_e32 v5, 13, v66
	v_lshrrev_b16_e32 v81, 10, v34
	v_sub_u16_e32 v80, v7, v5
	v_mov_b32_e32 v5, 6
	v_mul_lo_u16_e32 v34, 13, v81
	v_mul_u32_u24_sdwa v29, v80, v5 dst_sel:DWORD dst_unused:UNUSED_PAD src0_sel:BYTE_0 src1_sel:DWORD
	v_sub_u16_e32 v82, v15, v34
	v_lshlrev_b32_e32 v29, 2, v29
	v_mul_u32_u24_sdwa v5, v82, v5 dst_sel:DWORD dst_unused:UNUSED_PAD src0_sel:BYTE_0 src1_sel:DWORD
	global_load_dwordx4 v[30:33], v29, s[8:9]
	global_load_dwordx2 v[38:39], v29, s[8:9] offset:16
	v_lshlrev_b32_e32 v29, 2, v5
	v_add_u32_e32 v5, 0xb6, v7
	s_movk_i32 s2, 0x4ec5
	v_mul_u32_u24_sdwa v40, v5, s2 dst_sel:DWORD dst_unused:UNUSED_PAD src0_sel:WORD_0 src1_sel:DWORD
	v_lshrrev_b32_e32 v40, 18, v40
	v_mul_lo_u16_e32 v40, 13, v40
	v_sub_u16_e32 v83, v5, v40
	global_load_dwordx4 v[34:37], v29, s[8:9]
	global_load_dwordx2 v[58:59], v29, s[8:9] offset:16
	v_mul_u32_u24_e32 v29, 6, v83
	v_lshlrev_b32_e32 v29, 2, v29
	global_load_dwordx4 v[54:57], v29, s[8:9]
	global_load_dwordx2 v[60:61], v29, s[8:9] offset:16
	v_lshrrev_b32_e32 v84, 16, v49
	v_lshrrev_b32_e32 v85, 16, v0
	;; [unrolled: 1-line block ×4, first 2 shown]
	s_movk_i32 s5, 0x2b26
	s_movk_i32 s4, 0x3b00
	s_mov_b32 s12, 0xbcab
	s_movk_i32 s13, 0x39e0
	s_mov_b32 s14, 0xb9e0
	;; [unrolled: 2-line block ×3, first 2 shown]
	s_movk_i32 s18, 0x370e
	s_movk_i32 s2, 0xb6
	s_waitcnt lgkmcnt(0)
	s_barrier
	s_waitcnt vmcnt(5)
	v_mul_f16_sdwa v29, v28, v30 dst_sel:DWORD dst_unused:UNUSED_PAD src0_sel:DWORD src1_sel:WORD_1
	v_mul_f16_sdwa v43, v77, v31 dst_sel:DWORD dst_unused:UNUSED_PAD src0_sel:DWORD src1_sel:WORD_1
	;; [unrolled: 1-line block ×5, first 2 shown]
	v_fma_f16 v41, v79, v30, -v29
	v_fma_f16 v45, v26, v31, v43
	v_fma_f16 v43, v75, v32, -v46
	v_fma_f16 v46, v24, v32, v47
	s_waitcnt vmcnt(3)
	v_mul_f16_sdwa v91, v20, v35 dst_sel:DWORD dst_unused:UNUSED_PAD src0_sel:DWORD src1_sel:WORD_1
	v_mul_f16_sdwa v92, v71, v35 dst_sel:DWORD dst_unused:UNUSED_PAD src0_sel:DWORD src1_sel:WORD_1
	;; [unrolled: 1-line block ×5, first 2 shown]
	v_fma_f16 v29, v71, v35, -v91
	v_fma_f16 v32, v20, v35, v92
	v_fma_f16 v35, v23, v37, v96
	s_waitcnt vmcnt(1)
	v_mul_f16_sdwa v23, v63, v57 dst_sel:DWORD dst_unused:UNUSED_PAD src0_sel:DWORD src1_sel:WORD_1
	v_mul_f16_sdwa v48, v19, v33 dst_sel:DWORD dst_unused:UNUSED_PAD src0_sel:DWORD src1_sel:WORD_1
	;; [unrolled: 1-line block ×8, first 2 shown]
	v_fma_f16 v42, v77, v31, -v42
	v_fma_f16 v31, v22, v34, v90
	v_mul_f16_sdwa v22, v2, v57 dst_sel:DWORD dst_unused:UNUSED_PAD src0_sel:DWORD src1_sel:WORD_1
	v_fma_f16 v23, v2, v57, v23
	v_lshrrev_b32_e32 v2, 16, v2
	v_fma_f16 v47, v70, v33, -v48
	v_fma_f16 v48, v19, v33, v50
	v_fma_f16 v50, v78, v38, -v51
	v_fma_f16 v51, v27, v38, v52
	;; [unrolled: 2-line block ×3, first 2 shown]
	v_lshrrev_b32_e32 v25, 16, v63
	s_waitcnt vmcnt(0)
	v_mul_f16_sdwa v24, v2, v60 dst_sel:DWORD dst_unused:UNUSED_PAD src0_sel:DWORD src1_sel:WORD_1
	v_fma_f16 v24, v25, v60, -v24
	v_mul_f16_sdwa v25, v25, v60 dst_sel:DWORD dst_unused:UNUSED_PAD src0_sel:DWORD src1_sel:WORD_1
	v_fma_f16 v25, v2, v60, v25
	v_mul_f16_sdwa v2, v4, v61 dst_sel:DWORD dst_unused:UNUSED_PAD src0_sel:DWORD src1_sel:WORD_1
	v_mul_f16_sdwa v40, v79, v30 dst_sel:DWORD dst_unused:UNUSED_PAD src0_sel:DWORD src1_sel:WORD_1
	;; [unrolled: 1-line block ×4, first 2 shown]
	v_fma_f16 v26, v64, v61, -v2
	v_mul_f16_sdwa v2, v64, v61 dst_sel:DWORD dst_unused:UNUSED_PAD src0_sel:DWORD src1_sel:WORD_1
	v_mul_f16_sdwa v94, v68, v36 dst_sel:DWORD dst_unused:UNUSED_PAD src0_sel:DWORD src1_sel:WORD_1
	;; [unrolled: 1-line block ×7, first 2 shown]
	v_fma_f16 v44, v28, v30, v40
	v_fma_f16 v28, v73, v34, -v89
	v_fma_f16 v34, v74, v37, -v95
	v_fma_f16 v37, v21, v58, v98
	v_fma_f16 v20, v1, v55, v104
	v_mul_f16_sdwa v1, v87, v56 dst_sel:DWORD dst_unused:UNUSED_PAD src0_sel:DWORD src1_sel:WORD_1
	v_mul_f16_sdwa v21, v86, v56 dst_sel:DWORD dst_unused:UNUSED_PAD src0_sel:DWORD src1_sel:WORD_1
	v_fma_f16 v27, v4, v61, v2
	v_add_f16_e32 v2, v41, v52
	v_add_f16_e32 v38, v42, v50
	v_mul_f16_sdwa v93, v17, v36 dst_sel:DWORD dst_unused:UNUSED_PAD src0_sel:DWORD src1_sel:WORD_1
	v_mul_f16_sdwa v99, v18, v59 dst_sel:DWORD dst_unused:UNUSED_PAD src0_sel:DWORD src1_sel:WORD_1
	v_fma_f16 v33, v17, v36, v94
	v_fma_f16 v40, v18, v59, v100
	v_fma_f16 v17, v84, v54, -v101
	v_fma_f16 v19, v85, v54, v102
	v_fma_f16 v18, v62, v55, -v103
	v_fma_f16 v1, v86, v56, -v1
	v_fma_f16 v21, v87, v56, v21
	v_fma_f16 v22, v63, v57, -v22
	v_sub_f16_e32 v4, v44, v53
	v_sub_f16_e32 v54, v45, v51
	v_add_f16_e32 v55, v43, v47
	v_sub_f16_e32 v56, v48, v46
	v_add_f16_e32 v57, v38, v2
	v_fma_f16 v30, v68, v36, -v93
	v_fma_f16 v36, v72, v58, -v97
	;; [unrolled: 1-line block ×3, first 2 shown]
	v_sub_f16_e32 v58, v38, v2
	v_sub_f16_e32 v2, v2, v55
	v_sub_f16_e32 v38, v55, v38
	v_add_f16_e32 v59, v56, v54
	v_sub_f16_e32 v60, v56, v54
	v_sub_f16_e32 v54, v54, v4
	v_add_f16_e32 v55, v55, v57
	v_sub_f16_e32 v56, v4, v56
	v_add_f16_e32 v4, v59, v4
	v_add_f16_e32 v57, v67, v55
	v_mul_f16_e32 v2, 0x3a52, v2
	v_mul_f16_e32 v59, 0x2b26, v38
	;; [unrolled: 1-line block ×4, first 2 shown]
	v_fma_f16 v55, v55, s12, v57
	v_fma_f16 v38, v38, s5, v2
	v_fma_f16 v59, v58, s13, -v59
	v_fma_f16 v2, v58, s14, -v2
	v_fma_f16 v58, v56, s15, v60
	v_fma_f16 v54, v54, s4, -v60
	v_fma_f16 v56, v56, s19, -v61
	v_add_f16_e32 v38, v38, v55
	v_add_f16_e32 v59, v59, v55
	;; [unrolled: 1-line block ×3, first 2 shown]
	v_fma_f16 v55, v4, s18, v58
	v_fma_f16 v54, v4, s18, v54
	;; [unrolled: 1-line block ×3, first 2 shown]
	v_add_f16_e32 v56, v55, v38
	v_add_f16_e32 v58, v4, v2
	v_sub_f16_e32 v2, v2, v4
	v_sub_f16_e32 v4, v38, v55
	v_add_f16_e32 v38, v28, v39
	v_add_f16_e32 v55, v29, v36
	v_sub_f16_e32 v61, v32, v37
	v_add_f16_e32 v62, v30, v34
	v_sub_f16_e32 v63, v35, v33
	;; [unrolled: 2-line block ×4, first 2 shown]
	v_sub_f16_e32 v67, v55, v38
	v_sub_f16_e32 v38, v38, v62
	;; [unrolled: 1-line block ×3, first 2 shown]
	v_add_f16_e32 v68, v63, v61
	v_sub_f16_e32 v69, v63, v61
	v_add_f16_e32 v62, v62, v64
	v_sub_f16_e32 v63, v54, v63
	v_sub_f16_e32 v61, v61, v54
	v_add_f16_e32 v54, v68, v54
	v_add_f16_e32 v64, v65, v62
	v_mul_f16_e32 v38, 0x3a52, v38
	v_mul_f16_e32 v65, 0x2b26, v55
	;; [unrolled: 1-line block ×4, first 2 shown]
	v_fma_f16 v62, v62, s12, v64
	v_fma_f16 v55, v55, s5, v38
	v_fma_f16 v65, v67, s13, -v65
	v_fma_f16 v38, v67, s14, -v38
	v_fma_f16 v67, v63, s15, v68
	v_fma_f16 v61, v61, s4, -v68
	v_fma_f16 v63, v63, s19, -v69
	v_add_f16_e32 v55, v55, v62
	v_add_f16_e32 v65, v65, v62
	;; [unrolled: 1-line block ×3, first 2 shown]
	v_fma_f16 v62, v54, s18, v67
	v_fma_f16 v61, v54, s18, v61
	;; [unrolled: 1-line block ×3, first 2 shown]
	v_add_f16_e32 v63, v62, v55
	v_sub_f16_e32 v62, v55, v62
	v_mov_b32_e32 v55, 1
	v_add_f16_e32 v67, v54, v38
	v_sub_f16_e32 v68, v65, v61
	v_add_f16_e32 v61, v61, v65
	v_sub_f16_e32 v38, v38, v54
	v_mad_u32_u24 v54, v66, s2, 0
	v_lshlrev_b32_sdwa v65, v55, v80 dst_sel:DWORD dst_unused:UNUSED_PAD src0_sel:DWORD src1_sel:BYTE_0
	v_add3_u32 v54, v54, v65, v13
	ds_write_b16 v54, v57
	ds_write_b16 v54, v56 offset:26
	ds_write_b16 v54, v58 offset:52
	;; [unrolled: 1-line block ×6, first 2 shown]
	v_mad_u32_u24 v2, v81, s2, 0
	v_lshlrev_b32_sdwa v4, v55, v82 dst_sel:DWORD dst_unused:UNUSED_PAD src0_sel:DWORD src1_sel:BYTE_0
	v_add3_u32 v55, v2, v4, v13
	ds_write_b16 v55, v64
	ds_write_b16 v55, v63 offset:26
	ds_write_b16 v55, v67 offset:52
	ds_write_b16 v55, v68 offset:78
	ds_write_b16 v55, v61 offset:104
	ds_write_b16 v55, v38 offset:130
	ds_write_b16 v55, v62 offset:156
	v_lshlrev_b32_e32 v38, 1, v83
	s_and_saveexec_b64 s[2:3], s[0:1]
	s_cbranch_execz .LBB0_25
; %bb.24:
	v_add_f16_e32 v2, v17, v26
	v_add_f16_e32 v57, v18, v24
	;; [unrolled: 1-line block ×4, first 2 shown]
	v_sub_f16_e32 v61, v23, v21
	v_sub_f16_e32 v63, v20, v25
	;; [unrolled: 1-line block ×4, first 2 shown]
	v_add_f16_e32 v4, v4, v60
	v_sub_f16_e32 v60, v19, v27
	v_sub_f16_e32 v64, v61, v63
	v_mul_f16_e32 v56, 0x3a52, v56
	v_mul_f16_e32 v59, 0x2b26, v58
	v_add_f16_e32 v49, v49, v4
	v_sub_f16_e32 v62, v60, v61
	v_mul_f16_e32 v64, 0xb846, v64
	v_add_f16_e32 v61, v61, v63
	v_sub_f16_e32 v2, v57, v2
	v_sub_f16_e32 v57, v63, v60
	v_fma_f16 v58, v58, s5, v56
	v_fma_f16 v4, v4, s12, v49
	;; [unrolled: 1-line block ×3, first 2 shown]
	v_add_f16_e32 v61, v61, v60
	v_fma_f16 v56, v2, s14, -v56
	v_mul_f16_e32 v60, 0x3b00, v57
	v_fma_f16 v57, v57, s4, -v64
	v_fma_f16 v2, v2, s13, -v59
	v_add_f16_e32 v58, v58, v4
	v_fma_f16 v65, v61, s18, v65
	v_fma_f16 v60, v62, s19, -v60
	v_fma_f16 v57, v61, s18, v57
	v_add_f16_e32 v2, v2, v4
	v_sub_f16_e32 v66, v58, v65
	v_add_f16_e32 v56, v56, v4
	v_fma_f16 v60, v61, s18, v60
	v_add_f16_e32 v4, v57, v2
	v_sub_f16_e32 v2, v2, v57
	v_add_f16_e32 v57, v65, v58
	v_add3_u32 v58, 0, v38, v13
	v_sub_f16_e32 v62, v56, v60
	v_add_f16_e32 v56, v60, v56
	ds_write_b16 v58, v49 offset:2548
	ds_write_b16 v58, v57 offset:2574
	;; [unrolled: 1-line block ×7, first 2 shown]
.LBB0_25:
	s_or_b64 exec, exec, s[2:3]
	v_add_f16_e32 v2, v44, v53
	v_sub_f16_e32 v4, v41, v52
	v_add_f16_e32 v41, v45, v51
	v_sub_f16_e32 v42, v42, v50
	;; [unrolled: 2-line block ×4, first 2 shown]
	v_sub_f16_e32 v2, v2, v44
	v_sub_f16_e32 v41, v44, v41
	v_add_f16_e32 v47, v43, v42
	v_sub_f16_e32 v48, v43, v42
	v_sub_f16_e32 v42, v42, v4
	v_add_f16_e32 v44, v44, v45
	v_sub_f16_e32 v43, v4, v43
	v_add_f16_e32 v4, v47, v4
	v_add_f16_e32 v45, v16, v44
	v_mul_f16_e32 v2, 0x3a52, v2
	v_mul_f16_e32 v16, 0x2b26, v41
	;; [unrolled: 1-line block ×4, first 2 shown]
	v_fma_f16 v44, v44, s12, v45
	v_fma_f16 v41, v41, s5, v2
	v_fma_f16 v16, v46, s13, -v16
	v_fma_f16 v2, v46, s14, -v2
	v_fma_f16 v46, v43, s15, v47
	v_fma_f16 v42, v42, s4, -v47
	v_fma_f16 v43, v43, s19, -v48
	v_add_f16_e32 v41, v41, v44
	v_add_f16_e32 v16, v16, v44
	;; [unrolled: 1-line block ×3, first 2 shown]
	v_fma_f16 v44, v4, s18, v46
	v_fma_f16 v42, v4, s18, v42
	;; [unrolled: 1-line block ×3, first 2 shown]
	v_sub_f16_e32 v46, v2, v4
	v_add_f16_e32 v47, v42, v16
	v_sub_f16_e32 v42, v16, v42
	v_add_f16_e32 v48, v4, v2
	v_add_f16_e32 v2, v31, v40
	;; [unrolled: 1-line block ×3, first 2 shown]
	v_sub_f16_e32 v4, v28, v39
	v_sub_f16_e32 v28, v29, v36
	v_add_f16_e32 v29, v33, v35
	v_sub_f16_e32 v30, v34, v30
	v_add_f16_e32 v31, v16, v2
	v_sub_f16_e32 v32, v16, v2
	v_sub_f16_e32 v2, v2, v29
	;; [unrolled: 1-line block ×3, first 2 shown]
	v_add_f16_e32 v33, v30, v28
	v_sub_f16_e32 v34, v30, v28
	v_sub_f16_e32 v28, v28, v4
	v_add_f16_e32 v29, v29, v31
	v_sub_f16_e32 v43, v41, v44
	v_add_f16_e32 v41, v44, v41
	;; [unrolled: 2-line block ×3, first 2 shown]
	v_add_f16_e32 v44, v6, v29
	v_mul_f16_e32 v2, 0x3a52, v2
	v_mul_f16_e32 v6, 0x2b26, v16
	;; [unrolled: 1-line block ×4, first 2 shown]
	v_fma_f16 v29, v29, s12, v44
	v_fma_f16 v16, v16, s5, v2
	v_fma_f16 v6, v32, s13, -v6
	v_fma_f16 v2, v32, s14, -v2
	v_fma_f16 v32, v30, s15, v31
	v_fma_f16 v28, v28, s4, -v31
	v_fma_f16 v30, v30, s19, -v33
	v_add_f16_e32 v16, v16, v29
	v_add_f16_e32 v6, v6, v29
	;; [unrolled: 1-line block ×3, first 2 shown]
	v_fma_f16 v29, v4, s18, v32
	v_fma_f16 v28, v4, s18, v28
	;; [unrolled: 1-line block ×3, first 2 shown]
	v_sub_f16_e32 v49, v16, v29
	v_sub_f16_e32 v50, v2, v4
	v_add_f16_e32 v51, v28, v6
	v_sub_f16_e32 v52, v6, v28
	v_add_f16_e32 v53, v4, v2
	v_add_f16_e32 v56, v29, v16
	s_waitcnt lgkmcnt(0)
	s_barrier
	v_add3_u32 v2, 0, v12, v13
	ds_read_u16 v16, v3
	ds_read_u16 v6, v14 offset:182
	ds_read_u16 v34, v2 offset:728
	;; [unrolled: 1-line block ×14, first 2 shown]
	s_waitcnt lgkmcnt(0)
	s_barrier
	ds_write_b16 v54, v45
	ds_write_b16 v54, v43 offset:26
	ds_write_b16 v54, v46 offset:52
	ds_write_b16 v54, v47 offset:78
	ds_write_b16 v54, v42 offset:104
	ds_write_b16 v54, v48 offset:130
	ds_write_b16 v54, v41 offset:156
	ds_write_b16 v55, v44
	ds_write_b16 v55, v49 offset:26
	ds_write_b16 v55, v50 offset:52
	ds_write_b16 v55, v51 offset:78
	ds_write_b16 v55, v52 offset:104
	ds_write_b16 v55, v53 offset:130
	ds_write_b16 v55, v56 offset:156
	s_and_saveexec_b64 s[2:3], s[0:1]
	s_cbranch_execz .LBB0_27
; %bb.26:
	v_add_f16_e32 v19, v19, v27
	v_add_f16_e32 v20, v20, v25
	;; [unrolled: 1-line block ×3, first 2 shown]
	v_sub_f16_e32 v1, v22, v1
	v_add_f16_e32 v22, v20, v19
	v_sub_f16_e32 v23, v20, v19
	v_sub_f16_e32 v19, v19, v21
	;; [unrolled: 1-line block ×3, first 2 shown]
	v_mul_f16_e32 v19, 0x3a52, v19
	s_movk_i32 s0, 0x2b26
	v_sub_f16_e32 v18, v18, v24
	v_add_f16_e32 v21, v21, v22
	v_mul_f16_e32 v22, 0x2b26, v20
	v_fma_f16 v20, v20, s0, v19
	s_movk_i32 s0, 0x39e0
	v_sub_f16_e32 v17, v17, v26
	v_add_f16_e32 v24, v1, v18
	v_sub_f16_e32 v25, v1, v18
	v_fma_f16 v22, v23, s0, -v22
	s_mov_b32 s0, 0xb9e0
	v_sub_f16_e32 v1, v17, v1
	v_sub_f16_e32 v18, v18, v17
	v_add_f16_e32 v17, v24, v17
	v_mul_f16_e32 v24, 0xb846, v25
	v_fma_f16 v19, v23, s0, -v19
	s_movk_i32 s0, 0x3574
	v_add_f16_e32 v0, v0, v21
	v_mul_f16_e32 v25, 0x3b00, v18
	s_mov_b32 s4, 0xbcab
	v_fma_f16 v23, v1, s0, v24
	s_mov_b32 s0, 0xb574
	s_movk_i32 s1, 0x3b00
	v_fma_f16 v21, v21, s4, v0
	v_fma_f16 v1, v1, s0, -v25
	s_movk_i32 s0, 0x370e
	v_fma_f16 v18, v18, s1, -v24
	v_add_f16_e32 v20, v20, v21
	v_add_f16_e32 v22, v22, v21
	;; [unrolled: 1-line block ×3, first 2 shown]
	v_fma_f16 v21, v17, s0, v23
	v_fma_f16 v1, v17, s0, v1
	;; [unrolled: 1-line block ×3, first 2 shown]
	v_sub_f16_e32 v17, v20, v21
	v_sub_f16_e32 v23, v19, v1
	v_add_f16_e32 v1, v1, v19
	v_add_f16_e32 v19, v21, v20
	v_add3_u32 v20, 0, v38, v13
	v_add_f16_e32 v24, v18, v22
	v_sub_f16_e32 v18, v22, v18
	ds_write_b16 v20, v0 offset:2548
	ds_write_b16 v20, v17 offset:2574
	;; [unrolled: 1-line block ×7, first 2 shown]
.LBB0_27:
	s_or_b64 exec, exec, s[2:3]
	v_lshlrev_b32_e32 v0, 2, v7
	v_mov_b32_e32 v1, 0
	s_movk_i32 s0, 0x6817
	v_lshl_add_u64 v[18:19], v[0:1], 2, s[8:9]
	v_mul_u32_u24_sdwa v0, v5, s0 dst_sel:DWORD dst_unused:UNUSED_PAD src0_sel:WORD_0 src1_sel:DWORD
	v_sub_u16_sdwa v17, v5, v0 dst_sel:DWORD dst_unused:UNUSED_PAD src0_sel:DWORD src1_sel:WORD_1
	v_lshrrev_b16_e32 v17, 1, v17
	v_add_u16_sdwa v0, v17, v0 dst_sel:DWORD dst_unused:UNUSED_PAD src0_sel:DWORD src1_sel:WORD_1
	v_lshrrev_b16_e32 v0, 6, v0
	s_waitcnt lgkmcnt(0)
	s_barrier
	global_load_dwordx4 v[18:21], v[18:19], off offset:312
	v_mul_lo_u16_e32 v0, 0x5b, v0
	v_sub_u16_e32 v0, v5, v0
	v_lshlrev_b32_e32 v17, 4, v0
	global_load_dwordx4 v[22:25], v17, s[8:9] offset:312
	ds_read_u16 v17, v3
	ds_read_u16 v26, v14 offset:182
	ds_read_u16 v27, v2 offset:728
	;; [unrolled: 1-line block ×14, first 2 shown]
	s_movk_i32 s1, 0x3b9c
	s_mov_b32 s3, 0xbb9c
	s_movk_i32 s0, 0x38b4
	s_mov_b32 s4, 0xb8b4
	s_movk_i32 s2, 0x34f2
	v_lshlrev_b32_e32 v0, 1, v0
	v_add3_u32 v0, 0, v0, v13
	s_waitcnt lgkmcnt(0)
	s_barrier
	s_waitcnt vmcnt(1)
	v_mul_f16_sdwa v54, v42, v19 dst_sel:DWORD dst_unused:UNUSED_PAD src0_sel:DWORD src1_sel:WORD_1
	v_mul_f16_sdwa v56, v50, v20 dst_sel:DWORD dst_unused:UNUSED_PAD src0_sel:DWORD src1_sel:WORD_1
	;; [unrolled: 1-line block ×11, first 2 shown]
	v_fma_f16 v36, v36, v19, -v54
	v_fma_f16 v40, v40, v20, -v56
	v_mul_f16_sdwa v58, v48, v21 dst_sel:DWORD dst_unused:UNUSED_PAD src0_sel:DWORD src1_sel:WORD_1
	v_mul_f16_sdwa v64, v41, v20 dst_sel:DWORD dst_unused:UNUSED_PAD src0_sel:DWORD src1_sel:WORD_1
	;; [unrolled: 1-line block ×3, first 2 shown]
	v_fma_f16 v37, v37, v18, -v52
	v_fma_f16 v44, v44, v18, v53
	v_fma_f16 v42, v42, v19, v55
	;; [unrolled: 1-line block ×3, first 2 shown]
	v_fma_f16 v34, v34, v18, -v60
	v_fma_f16 v18, v27, v18, v61
	v_fma_f16 v27, v33, v19, -v62
	v_fma_f16 v19, v38, v19, v63
	v_add_f16_e32 v38, v36, v40
	v_mul_f16_sdwa v66, v46, v21 dst_sel:DWORD dst_unused:UNUSED_PAD src0_sel:DWORD src1_sel:WORD_1
	v_mul_f16_sdwa v67, v35, v21 dst_sel:DWORD dst_unused:UNUSED_PAD src0_sel:DWORD src1_sel:WORD_1
	v_fma_f16 v50, v50, v20, v57
	v_fma_f16 v39, v39, v21, -v58
	v_fma_f16 v32, v32, v20, -v64
	v_fma_f16 v20, v41, v20, v65
	v_sub_f16_e32 v41, v44, v48
	v_fma_f16 v38, v38, -0.5, v16
	s_waitcnt vmcnt(0)
	v_mul_f16_sdwa v57, v49, v24 dst_sel:DWORD dst_unused:UNUSED_PAD src0_sel:DWORD src1_sel:WORD_1
	v_mul_f16_sdwa v58, v30, v24 dst_sel:DWORD dst_unused:UNUSED_PAD src0_sel:DWORD src1_sel:WORD_1
	;; [unrolled: 1-line block ×4, first 2 shown]
	v_fma_f16 v33, v35, v21, -v66
	v_fma_f16 v21, v46, v21, v67
	v_sub_f16_e32 v46, v42, v50
	v_fma_f16 v52, v41, s1, v38
	v_mul_f16_sdwa v53, v43, v22 dst_sel:DWORD dst_unused:UNUSED_PAD src0_sel:DWORD src1_sel:WORD_1
	v_mul_f16_sdwa v54, v28, v22 dst_sel:DWORD dst_unused:UNUSED_PAD src0_sel:DWORD src1_sel:WORD_1
	v_fma_f16 v30, v30, v24, -v57
	v_fma_f16 v24, v49, v24, v58
	v_fma_f16 v29, v29, v25, -v59
	v_fma_f16 v25, v47, v25, v60
	v_sub_f16_e32 v47, v37, v36
	v_sub_f16_e32 v49, v39, v40
	v_fma_f16 v38, v41, s3, v38
	v_fma_f16 v28, v28, v22, -v53
	v_fma_f16 v22, v43, v22, v54
	v_fma_f16 v43, v46, s0, v52
	v_add_f16_e32 v47, v47, v49
	v_fma_f16 v38, v46, s4, v38
	v_fma_f16 v43, v47, s2, v43
	;; [unrolled: 1-line block ×3, first 2 shown]
	v_add_f16_e32 v47, v37, v39
	v_add_f16_e32 v35, v16, v37
	v_mul_f16_sdwa v55, v51, v23 dst_sel:DWORD dst_unused:UNUSED_PAD src0_sel:DWORD src1_sel:WORD_1
	v_mul_f16_sdwa v56, v31, v23 dst_sel:DWORD dst_unused:UNUSED_PAD src0_sel:DWORD src1_sel:WORD_1
	v_fma_f16 v16, v47, -0.5, v16
	v_add_f16_e32 v35, v35, v36
	v_fma_f16 v31, v31, v23, -v55
	v_fma_f16 v23, v51, v23, v56
	v_fma_f16 v47, v46, s3, v16
	v_sub_f16_e32 v49, v36, v37
	v_sub_f16_e32 v51, v40, v39
	v_fma_f16 v16, v46, s1, v16
	v_add_f16_e32 v46, v42, v50
	v_add_f16_e32 v35, v35, v40
	v_fma_f16 v47, v41, s0, v47
	v_add_f16_e32 v49, v49, v51
	v_fma_f16 v16, v41, s4, v16
	v_fma_f16 v46, v46, -0.5, v17
	v_sub_f16_e32 v37, v37, v39
	v_add_f16_e32 v35, v35, v39
	v_fma_f16 v47, v49, s2, v47
	v_fma_f16 v16, v49, s2, v16
	;; [unrolled: 1-line block ×3, first 2 shown]
	v_sub_f16_e32 v36, v36, v40
	v_sub_f16_e32 v40, v44, v42
	;; [unrolled: 1-line block ×3, first 2 shown]
	v_fma_f16 v46, v37, s1, v46
	v_fma_f16 v39, v36, s4, v39
	v_add_f16_e32 v40, v40, v49
	v_fma_f16 v46, v36, s0, v46
	v_fma_f16 v39, v40, s2, v39
	;; [unrolled: 1-line block ×3, first 2 shown]
	v_add_f16_e32 v46, v44, v48
	v_add_f16_e32 v41, v17, v44
	v_fma_f16 v17, v46, -0.5, v17
	v_add_f16_e32 v41, v41, v42
	v_fma_f16 v46, v36, s1, v17
	v_sub_f16_e32 v42, v42, v44
	v_sub_f16_e32 v44, v50, v48
	v_fma_f16 v17, v36, s3, v17
	v_fma_f16 v46, v37, s4, v46
	v_add_f16_e32 v42, v42, v44
	v_fma_f16 v17, v37, s0, v17
	v_add_f16_e32 v37, v27, v32
	v_add_f16_e32 v41, v41, v50
	v_fma_f16 v44, v42, s2, v46
	v_fma_f16 v36, v42, s2, v17
	v_fma_f16 v37, v37, -0.5, v6
	v_sub_f16_e32 v42, v18, v21
	v_add_f16_e32 v41, v41, v48
	v_fma_f16 v46, v42, s1, v37
	v_sub_f16_e32 v48, v19, v20
	v_sub_f16_e32 v49, v34, v27
	;; [unrolled: 1-line block ×3, first 2 shown]
	v_fma_f16 v37, v42, s3, v37
	v_fma_f16 v46, v48, s0, v46
	v_add_f16_e32 v49, v49, v50
	v_fma_f16 v37, v48, s4, v37
	v_add_f16_e32 v17, v6, v34
	v_fma_f16 v46, v49, s2, v46
	v_fma_f16 v37, v49, s2, v37
	v_add_f16_e32 v49, v34, v33
	v_add_f16_e32 v17, v17, v27
	v_fma_f16 v6, v49, -0.5, v6
	v_add_f16_e32 v17, v17, v32
	v_fma_f16 v49, v48, s3, v6
	v_fma_f16 v6, v48, s1, v6
	v_add_f16_e32 v48, v19, v20
	v_add_f16_e32 v17, v17, v33
	v_sub_f16_e32 v50, v27, v34
	v_sub_f16_e32 v51, v32, v33
	v_fma_f16 v48, v48, -0.5, v26
	v_sub_f16_e32 v33, v34, v33
	v_fma_f16 v49, v42, s0, v49
	v_add_f16_e32 v50, v50, v51
	v_fma_f16 v6, v42, s4, v6
	v_fma_f16 v34, v33, s3, v48
	v_sub_f16_e32 v27, v27, v32
	v_fma_f16 v49, v50, s2, v49
	v_fma_f16 v6, v50, s2, v6
	;; [unrolled: 1-line block ×3, first 2 shown]
	v_sub_f16_e32 v34, v18, v19
	v_sub_f16_e32 v50, v21, v20
	v_fma_f16 v48, v33, s1, v48
	v_add_f16_e32 v34, v34, v50
	v_fma_f16 v48, v27, s0, v48
	v_add_f16_e32 v42, v26, v18
	v_fma_f16 v32, v34, s2, v32
	v_fma_f16 v34, v34, s2, v48
	v_add_f16_e32 v48, v18, v21
	v_add_f16_e32 v42, v42, v19
	v_fma_f16 v26, v48, -0.5, v26
	v_sub_f16_e32 v18, v19, v18
	v_sub_f16_e32 v19, v20, v21
	v_add_f16_e32 v18, v18, v19
	v_fma_f16 v19, v27, s3, v26
	v_fma_f16 v48, v27, s1, v26
	;; [unrolled: 1-line block ×5, first 2 shown]
	v_add_f16_e32 v19, v31, v30
	v_add_f16_e32 v42, v42, v20
	v_fma_f16 v19, v19, -0.5, v4
	v_sub_f16_e32 v20, v22, v25
	v_add_f16_e32 v42, v42, v21
	v_fma_f16 v21, v20, s1, v19
	v_sub_f16_e32 v26, v23, v24
	v_sub_f16_e32 v27, v28, v31
	;; [unrolled: 1-line block ×3, first 2 shown]
	v_fma_f16 v19, v20, s3, v19
	v_fma_f16 v21, v26, s0, v21
	v_add_f16_e32 v27, v27, v50
	v_fma_f16 v19, v26, s4, v19
	v_fma_f16 v21, v27, s2, v21
	v_fma_f16 v19, v27, s2, v19
	v_add_f16_e32 v27, v28, v29
	v_fma_f16 v48, v18, s2, v48
	v_add_f16_e32 v18, v4, v28
	v_fma_f16 v4, v27, -0.5, v4
	v_fma_f16 v27, v26, s3, v4
	v_fma_f16 v4, v26, s1, v4
	v_fma_f16 v27, v20, s0, v27
	v_fma_f16 v4, v20, s4, v4
	v_add_f16_e32 v20, v45, v22
	v_sub_f16_e32 v50, v31, v28
	v_sub_f16_e32 v51, v30, v29
	v_add_f16_e32 v20, v20, v23
	v_add_f16_e32 v50, v50, v51
	;; [unrolled: 1-line block ×4, first 2 shown]
	v_fma_f16 v27, v50, s2, v27
	v_fma_f16 v4, v50, s2, v4
	v_add_f16_e32 v50, v20, v25
	v_add_f16_e32 v20, v23, v24
	v_add_f16_e32 v18, v18, v30
	v_fma_f16 v20, v20, -0.5, v45
	v_sub_f16_e32 v26, v28, v29
	v_add_f16_e32 v18, v18, v29
	v_fma_f16 v28, v26, s3, v20
	v_sub_f16_e32 v29, v31, v30
	v_sub_f16_e32 v30, v22, v23
	;; [unrolled: 1-line block ×3, first 2 shown]
	v_fma_f16 v20, v26, s1, v20
	v_fma_f16 v28, v29, s4, v28
	v_add_f16_e32 v30, v30, v31
	v_fma_f16 v20, v29, s0, v20
	v_fma_f16 v31, v30, s2, v28
	;; [unrolled: 1-line block ×3, first 2 shown]
	v_add_f16_e32 v20, v22, v25
	v_fma_f16 v20, v20, -0.5, v45
	v_fma_f16 v28, v29, s1, v20
	v_sub_f16_e32 v22, v23, v22
	v_sub_f16_e32 v23, v24, v25
	v_fma_f16 v20, v29, s3, v20
	v_fma_f16 v28, v26, s4, v28
	v_add_f16_e32 v22, v22, v23
	v_fma_f16 v20, v26, s0, v20
	v_fma_f16 v45, v22, s2, v28
	;; [unrolled: 1-line block ×3, first 2 shown]
	ds_write_b16 v2, v35
	ds_write_b16 v2, v43 offset:182
	ds_write_b16 v2, v47 offset:364
	;; [unrolled: 1-line block ×14, first 2 shown]
	s_waitcnt lgkmcnt(0)
	s_barrier
	ds_read_u16 v18, v2 offset:1092
	ds_read_u16 v22, v2 offset:1274
	ds_read_u16 v4, v3
	ds_read_u16 v16, v14 offset:182
	ds_read_u16 v20, v2 offset:364
	;; [unrolled: 1-line block ×12, first 2 shown]
	s_waitcnt lgkmcnt(0)
	s_barrier
	ds_write_b16 v2, v41
	ds_write_b16 v2, v39 offset:182
	ds_write_b16 v2, v44 offset:364
	;; [unrolled: 1-line block ×14, first 2 shown]
	s_waitcnt lgkmcnt(0)
	s_barrier
	s_and_saveexec_b64 s[0:1], vcc
	s_cbranch_execz .LBB0_29
; %bb.28:
	v_add_u32_e32 v0, 0x2d8, v12
	v_lshl_add_u64 v[30:31], v[0:1], 2, s[8:9]
	global_load_dwordx2 v[30:31], v[30:31], off offset:1768
	v_add_u32_e32 v0, 0x222, v12
	v_lshl_add_u64 v[32:33], v[0:1], 2, s[8:9]
	global_load_dwordx2 v[32:33], v[32:33], off offset:1768
	v_lshlrev_b32_e32 v0, 1, v5
	v_lshl_add_u64 v[34:35], v[0:1], 2, s[8:9]
	global_load_dwordx2 v[34:35], v[34:35], off offset:1768
	v_lshlrev_b32_e32 v0, 1, v15
	v_lshl_add_u64 v[36:37], v[0:1], 2, s[8:9]
	ds_read_u16 v38, v2 offset:2548
	ds_read_u16 v39, v2 offset:2366
	;; [unrolled: 1-line block ×5, first 2 shown]
	global_load_dwordx2 v[36:37], v[36:37], off offset:1768
	v_mov_b32_e32 v13, v1
	v_lshl_add_u64 v[0:1], v[12:13], 2, s[8:9]
	ds_read_u16 v15, v2 offset:1638
	ds_read_u16 v43, v2 offset:1456
	;; [unrolled: 1-line block ×5, first 2 shown]
	global_load_dwordx2 v[0:1], v[0:1], off offset:1768
	v_mul_lo_u32 v5, s11, v10
	v_mul_lo_u32 v29, s10, v11
	v_mad_u64_u32 v[10:11], s[0:1], s10, v10, 0
	v_add3_u32 v11, v11, v29, v5
	s_movk_i32 s0, 0x3aee
	s_mov_b32 s1, 0xbaee
	s_mov_b32 s2, 0x20120121
	s_movk_i32 s3, 0x555
	ds_read_u16 v14, v14 offset:182
	ds_read_u16 v50, v2 offset:546
	ds_read_u16 v3, v3
	s_waitcnt vmcnt(4)
	v_mul_f16_sdwa v13, v28, v30 dst_sel:DWORD dst_unused:UNUSED_PAD src0_sel:DWORD src1_sel:WORD_1
	v_mul_f16_sdwa v29, v27, v31 dst_sel:DWORD dst_unused:UNUSED_PAD src0_sel:DWORD src1_sel:WORD_1
	s_waitcnt lgkmcnt(7)
	v_mul_f16_sdwa v5, v15, v30 dst_sel:DWORD dst_unused:UNUSED_PAD src0_sel:DWORD src1_sel:WORD_1
	v_mul_f16_sdwa v12, v38, v31 dst_sel:DWORD dst_unused:UNUSED_PAD src0_sel:DWORD src1_sel:WORD_1
	v_fma_f16 v13, v30, v15, v13
	v_fma_f16 v15, v31, v38, v29
	ds_read_u16 v38, v2 offset:728
	v_fma_f16 v5, v28, v30, -v5
	v_fma_f16 v12, v27, v31, -v12
	s_waitcnt vmcnt(3) lgkmcnt(7)
	v_mul_f16_sdwa v27, v43, v32 dst_sel:DWORD dst_unused:UNUSED_PAD src0_sel:DWORD src1_sel:WORD_1
	v_mul_f16_sdwa v28, v39, v33 dst_sel:DWORD dst_unused:UNUSED_PAD src0_sel:DWORD src1_sel:WORD_1
	;; [unrolled: 1-line block ×4, first 2 shown]
	ds_read_u16 v2, v2 offset:364
	v_add_f16_e32 v47, v13, v15
	v_sub_f16_e32 v49, v13, v15
	s_waitcnt lgkmcnt(1)
	v_add_f16_e32 v13, v13, v38
	v_fma_f16 v25, v25, v32, -v27
	v_fma_f16 v26, v26, v33, -v28
	v_fma_f16 v27, v32, v43, v29
	v_fma_f16 v28, v33, v39, v30
	v_sub_f16_e32 v31, v5, v12
	v_add_f16_e32 v48, v5, v12
	v_add_f16_e32 v5, v24, v5
	s_waitcnt vmcnt(2)
	v_mul_f16_sdwa v29, v44, v34 dst_sel:DWORD dst_unused:UNUSED_PAD src0_sel:DWORD src1_sel:WORD_1
	v_mul_f16_sdwa v30, v40, v35 dst_sel:DWORD dst_unused:UNUSED_PAD src0_sel:DWORD src1_sel:WORD_1
	;; [unrolled: 1-line block ×4, first 2 shown]
	v_add_f16_e32 v13, v15, v13
	v_add_f16_e32 v15, v27, v28
	;; [unrolled: 1-line block ×3, first 2 shown]
	v_sub_f16_e32 v5, v25, v26
	v_sub_f16_e32 v43, v27, v28
	v_add_f16_e32 v27, v27, v50
	v_fma_f16 v22, v22, v34, -v29
	v_fma_f16 v23, v23, v35, -v30
	v_fma_f16 v29, v34, v44, v32
	v_fma_f16 v30, v35, v40, v33
	v_fma_f16 v15, v15, -0.5, v50
	v_add_f16_e32 v27, v28, v27
	v_fma_f16 v28, v5, s0, v15
	v_fma_f16 v15, v5, s1, v15
	v_add_f16_e32 v5, v29, v30
	v_fma_f16 v38, v47, -0.5, v38
	v_add_f16_e32 v39, v25, v26
	v_add_f16_e32 v25, v21, v25
	s_waitcnt lgkmcnt(0)
	v_fma_f16 v5, v5, -0.5, v2
	v_add_f16_e32 v2, v29, v2
	v_fma_f16 v32, v31, s0, v38
	v_fma_f16 v31, v31, s1, v38
	v_fma_f16 v21, v39, -0.5, v21
	v_add_f16_e32 v25, v25, v26
	v_sub_f16_e32 v26, v22, v23
	v_add_f16_e32 v38, v22, v23
	v_sub_f16_e32 v39, v29, v30
	v_add_f16_e32 v29, v30, v2
	v_add_f16_e32 v2, v20, v22
	v_fma_f16 v35, v26, s0, v5
	v_fma_f16 v38, v38, -0.5, v20
	v_fma_f16 v26, v26, s1, v5
	v_add_f16_e32 v20, v2, v23
	s_waitcnt vmcnt(1)
	v_mul_f16_sdwa v2, v45, v36 dst_sel:DWORD dst_unused:UNUSED_PAD src0_sel:DWORD src1_sel:WORD_1
	v_mul_f16_sdwa v5, v41, v37 dst_sel:DWORD dst_unused:UNUSED_PAD src0_sel:DWORD src1_sel:WORD_1
	v_fma_f16 v2, v18, v36, -v2
	v_fma_f16 v5, v19, v37, -v5
	v_mul_f16_sdwa v18, v18, v36 dst_sel:DWORD dst_unused:UNUSED_PAD src0_sel:DWORD src1_sel:WORD_1
	v_sub_f16_e32 v22, v2, v5
	v_fma_f16 v18, v36, v45, v18
	v_add_f16_e32 v36, v2, v5
	v_add_f16_e32 v2, v16, v2
	v_mul_f16_sdwa v19, v19, v37 dst_sel:DWORD dst_unused:UNUSED_PAD src0_sel:DWORD src1_sel:WORD_1
	v_fma_f16 v36, v36, -0.5, v16
	v_add_f16_e32 v16, v2, v5
	s_waitcnt vmcnt(0)
	v_mul_f16_sdwa v2, v46, v0 dst_sel:DWORD dst_unused:UNUSED_PAD src0_sel:DWORD src1_sel:WORD_1
	v_fma_f16 v19, v37, v41, v19
	v_fma_f16 v2, v6, v0, -v2
	v_mul_f16_sdwa v6, v6, v0 dst_sel:DWORD dst_unused:UNUSED_PAD src0_sel:DWORD src1_sel:WORD_1
	v_add_f16_e32 v23, v18, v19
	v_mul_f16_sdwa v5, v42, v1 dst_sel:DWORD dst_unused:UNUSED_PAD src0_sel:DWORD src1_sel:WORD_1
	v_fma_f16 v0, v0, v46, v6
	v_mul_f16_sdwa v6, v17, v1 dst_sel:DWORD dst_unused:UNUSED_PAD src0_sel:DWORD src1_sel:WORD_1
	v_fma_f16 v23, v23, -0.5, v14
	v_add_f16_e32 v14, v18, v14
	v_fma_f16 v5, v17, v1, -v5
	v_fma_f16 v1, v1, v42, v6
	v_sub_f16_e32 v37, v18, v19
	v_add_f16_e32 v14, v19, v14
	v_add_f16_e32 v6, v0, v1
	;; [unrolled: 1-line block ×3, first 2 shown]
	v_fma_f16 v40, v39, s1, v38
	v_fma_f16 v38, v39, s0, v38
	;; [unrolled: 1-line block ×6, first 2 shown]
	v_sub_f16_e32 v18, v2, v5
	v_fma_f16 v6, v6, -0.5, v3
	v_fma_f16 v19, v19, -0.5, v4
	v_sub_f16_e32 v36, v0, v1
	v_add_f16_e32 v0, v0, v3
	v_fma_f16 v17, v18, s0, v6
	v_fma_f16 v37, v36, s1, v19
	;; [unrolled: 1-line block ×4, first 2 shown]
	v_add_f16_e32 v19, v1, v0
	v_add_f16_e32 v0, v4, v2
	v_add_f16_e32 v4, v0, v5
	v_mul_hi_u32 v0, v7, s2
	v_sub_u32_e32 v1, v7, v0
	v_lshrrev_b32_e32 v1, 1, v1
	v_add_u32_e32 v0, v1, v0
	v_lshrrev_b32_e32 v0, 8, v0
	v_mul_u32_u24_e32 v0, 0x1c7, v0
	v_fma_f16 v24, v48, -0.5, v24
	v_sub_u32_e32 v36, v7, v0
	v_fma_f16 v33, v49, s1, v24
	v_fma_f16 v24, v49, s0, v24
	;; [unrolled: 1-line block ×4, first 2 shown]
	v_mad_u64_u32 v[0:1], s[0:1], s16, v36, 0
	v_mov_b32_e32 v2, v1
	v_mad_u64_u32 v[2:3], s[0:1], s17, v36, v[2:3]
	v_mov_b32_e32 v1, v2
	v_lshl_add_u64 v[2:3], v[10:11], 2, s[6:7]
	v_lshl_add_u64 v[2:3], v[8:9], 2, v[2:3]
	;; [unrolled: 1-line block ×3, first 2 shown]
	v_pack_b32_f16 v4, v4, v19
	v_add_u32_e32 v5, 0x1c7, v36
	global_store_dword v[0:1], v4, off
	v_mad_u64_u32 v[0:1], s[0:1], s16, v5, 0
	v_mov_b32_e32 v4, v1
	v_mad_u64_u32 v[4:5], s[0:1], s17, v5, v[4:5]
	v_mov_b32_e32 v1, v4
	v_lshl_add_u64 v[0:1], v[0:1], 2, v[2:3]
	v_pack_b32_f16 v4, v18, v6
	v_add_u32_e32 v5, 0x38e, v36
	global_store_dword v[0:1], v4, off
	v_mad_u64_u32 v[0:1], s[0:1], s16, v5, 0
	v_mov_b32_e32 v4, v1
	v_mad_u64_u32 v[4:5], s[0:1], s17, v5, v[4:5]
	v_mov_b32_e32 v1, v4
	v_lshl_add_u64 v[0:1], v[0:1], 2, v[2:3]
	v_pack_b32_f16 v4, v37, v17
	global_store_dword v[0:1], v4, off
	v_add_u32_e32 v0, 0x5b, v7
	v_mul_hi_u32 v1, v0, s2
	v_sub_u32_e32 v4, v0, v1
	v_lshrrev_b32_e32 v4, 1, v4
	v_add_u32_e32 v1, v4, v1
	v_lshrrev_b32_e32 v1, 8, v1
	v_mul_u32_u24_e32 v4, 0x1c7, v1
	v_sub_u32_e32 v0, v0, v4
	v_mad_u32_u24 v6, v1, s3, v0
	v_mad_u64_u32 v[0:1], s[0:1], s16, v6, 0
	v_mov_b32_e32 v4, v1
	v_mad_u64_u32 v[4:5], s[0:1], s17, v6, v[4:5]
	v_mov_b32_e32 v1, v4
	v_lshl_add_u64 v[0:1], v[0:1], 2, v[2:3]
	v_pack_b32_f16 v4, v16, v14
	v_add_u32_e32 v5, 0x1c7, v6
	global_store_dword v[0:1], v4, off
	v_mad_u64_u32 v[0:1], s[0:1], s16, v5, 0
	v_mov_b32_e32 v4, v1
	v_mad_u64_u32 v[4:5], s[0:1], s17, v5, v[4:5]
	v_mov_b32_e32 v1, v4
	v_lshl_add_u64 v[0:1], v[0:1], 2, v[2:3]
	v_pack_b32_f16 v4, v23, v22
	v_add_u32_e32 v5, 0x38e, v6
	global_store_dword v[0:1], v4, off
	v_mad_u64_u32 v[0:1], s[0:1], s16, v5, 0
	v_mov_b32_e32 v4, v1
	v_mad_u64_u32 v[4:5], s[0:1], s17, v5, v[4:5]
	v_mov_b32_e32 v1, v4
	v_lshl_add_u64 v[0:1], v[0:1], 2, v[2:3]
	v_pack_b32_f16 v4, v39, v30
	global_store_dword v[0:1], v4, off
	v_add_u32_e32 v0, 0xb6, v7
	v_mul_hi_u32 v1, v0, s2
	v_sub_u32_e32 v4, v0, v1
	v_lshrrev_b32_e32 v4, 1, v4
	v_add_u32_e32 v1, v4, v1
	v_lshrrev_b32_e32 v1, 8, v1
	v_mul_u32_u24_e32 v4, 0x1c7, v1
	v_sub_u32_e32 v0, v0, v4
	v_mad_u32_u24 v6, v1, s3, v0
	v_mad_u64_u32 v[0:1], s[0:1], s16, v6, 0
	v_mov_b32_e32 v4, v1
	v_mad_u64_u32 v[4:5], s[0:1], s17, v6, v[4:5]
	v_mov_b32_e32 v1, v4
	v_lshl_add_u64 v[0:1], v[0:1], 2, v[2:3]
	;; [unrolled: 32-line block ×4, first 2 shown]
	v_pack_b32_f16 v4, v12, v13
	v_add_u32_e32 v5, 0x1c7, v6
	global_store_dword v[0:1], v4, off
	v_mad_u64_u32 v[0:1], s[0:1], s16, v5, 0
	v_mov_b32_e32 v4, v1
	v_mad_u64_u32 v[4:5], s[0:1], s17, v5, v[4:5]
	v_mov_b32_e32 v1, v4
	v_lshl_add_u64 v[0:1], v[0:1], 2, v[2:3]
	v_pack_b32_f16 v4, v24, v31
	v_add_u32_e32 v5, 0x38e, v6
	global_store_dword v[0:1], v4, off
	v_mad_u64_u32 v[0:1], s[0:1], s16, v5, 0
	v_mov_b32_e32 v4, v1
	v_mad_u64_u32 v[4:5], s[0:1], s17, v5, v[4:5]
	v_mov_b32_e32 v1, v4
	v_lshl_add_u64 v[0:1], v[0:1], 2, v[2:3]
	v_pack_b32_f16 v2, v33, v32
	global_store_dword v[0:1], v2, off
.LBB0_29:
	s_endpgm
	.section	.rodata,"a",@progbits
	.p2align	6, 0x0
	.amdhsa_kernel fft_rtc_fwd_len1365_factors_13_7_5_3_wgs_182_tpt_91_halfLds_half_op_CI_CI_sbrr_dirReg
		.amdhsa_group_segment_fixed_size 0
		.amdhsa_private_segment_fixed_size 0
		.amdhsa_kernarg_size 104
		.amdhsa_user_sgpr_count 2
		.amdhsa_user_sgpr_dispatch_ptr 0
		.amdhsa_user_sgpr_queue_ptr 0
		.amdhsa_user_sgpr_kernarg_segment_ptr 1
		.amdhsa_user_sgpr_dispatch_id 0
		.amdhsa_user_sgpr_kernarg_preload_length 0
		.amdhsa_user_sgpr_kernarg_preload_offset 0
		.amdhsa_user_sgpr_private_segment_size 0
		.amdhsa_uses_dynamic_stack 0
		.amdhsa_enable_private_segment 0
		.amdhsa_system_sgpr_workgroup_id_x 1
		.amdhsa_system_sgpr_workgroup_id_y 0
		.amdhsa_system_sgpr_workgroup_id_z 0
		.amdhsa_system_sgpr_workgroup_info 0
		.amdhsa_system_vgpr_workitem_id 0
		.amdhsa_next_free_vgpr 105
		.amdhsa_next_free_sgpr 32
		.amdhsa_accum_offset 108
		.amdhsa_reserve_vcc 1
		.amdhsa_float_round_mode_32 0
		.amdhsa_float_round_mode_16_64 0
		.amdhsa_float_denorm_mode_32 3
		.amdhsa_float_denorm_mode_16_64 3
		.amdhsa_dx10_clamp 1
		.amdhsa_ieee_mode 1
		.amdhsa_fp16_overflow 0
		.amdhsa_tg_split 0
		.amdhsa_exception_fp_ieee_invalid_op 0
		.amdhsa_exception_fp_denorm_src 0
		.amdhsa_exception_fp_ieee_div_zero 0
		.amdhsa_exception_fp_ieee_overflow 0
		.amdhsa_exception_fp_ieee_underflow 0
		.amdhsa_exception_fp_ieee_inexact 0
		.amdhsa_exception_int_div_zero 0
	.end_amdhsa_kernel
	.text
.Lfunc_end0:
	.size	fft_rtc_fwd_len1365_factors_13_7_5_3_wgs_182_tpt_91_halfLds_half_op_CI_CI_sbrr_dirReg, .Lfunc_end0-fft_rtc_fwd_len1365_factors_13_7_5_3_wgs_182_tpt_91_halfLds_half_op_CI_CI_sbrr_dirReg
                                        ; -- End function
	.section	.AMDGPU.csdata,"",@progbits
; Kernel info:
; codeLenInByte = 15660
; NumSgprs: 38
; NumVgprs: 105
; NumAgprs: 0
; TotalNumVgprs: 105
; ScratchSize: 0
; MemoryBound: 0
; FloatMode: 240
; IeeeMode: 1
; LDSByteSize: 0 bytes/workgroup (compile time only)
; SGPRBlocks: 4
; VGPRBlocks: 13
; NumSGPRsForWavesPerEU: 38
; NumVGPRsForWavesPerEU: 105
; AccumOffset: 108
; Occupancy: 4
; WaveLimiterHint : 1
; COMPUTE_PGM_RSRC2:SCRATCH_EN: 0
; COMPUTE_PGM_RSRC2:USER_SGPR: 2
; COMPUTE_PGM_RSRC2:TRAP_HANDLER: 0
; COMPUTE_PGM_RSRC2:TGID_X_EN: 1
; COMPUTE_PGM_RSRC2:TGID_Y_EN: 0
; COMPUTE_PGM_RSRC2:TGID_Z_EN: 0
; COMPUTE_PGM_RSRC2:TIDIG_COMP_CNT: 0
; COMPUTE_PGM_RSRC3_GFX90A:ACCUM_OFFSET: 26
; COMPUTE_PGM_RSRC3_GFX90A:TG_SPLIT: 0
	.text
	.p2alignl 6, 3212836864
	.fill 256, 4, 3212836864
	.type	__hip_cuid_48ebca3776cf1df9,@object ; @__hip_cuid_48ebca3776cf1df9
	.section	.bss,"aw",@nobits
	.globl	__hip_cuid_48ebca3776cf1df9
__hip_cuid_48ebca3776cf1df9:
	.byte	0                               ; 0x0
	.size	__hip_cuid_48ebca3776cf1df9, 1

	.ident	"AMD clang version 19.0.0git (https://github.com/RadeonOpenCompute/llvm-project roc-6.4.0 25133 c7fe45cf4b819c5991fe208aaa96edf142730f1d)"
	.section	".note.GNU-stack","",@progbits
	.addrsig
	.addrsig_sym __hip_cuid_48ebca3776cf1df9
	.amdgpu_metadata
---
amdhsa.kernels:
  - .agpr_count:     0
    .args:
      - .actual_access:  read_only
        .address_space:  global
        .offset:         0
        .size:           8
        .value_kind:     global_buffer
      - .offset:         8
        .size:           8
        .value_kind:     by_value
      - .actual_access:  read_only
        .address_space:  global
        .offset:         16
        .size:           8
        .value_kind:     global_buffer
      - .actual_access:  read_only
        .address_space:  global
        .offset:         24
        .size:           8
        .value_kind:     global_buffer
      - .actual_access:  read_only
        .address_space:  global
        .offset:         32
        .size:           8
        .value_kind:     global_buffer
      - .offset:         40
        .size:           8
        .value_kind:     by_value
      - .actual_access:  read_only
        .address_space:  global
        .offset:         48
        .size:           8
        .value_kind:     global_buffer
      - .actual_access:  read_only
        .address_space:  global
        .offset:         56
        .size:           8
        .value_kind:     global_buffer
      - .offset:         64
        .size:           4
        .value_kind:     by_value
      - .actual_access:  read_only
        .address_space:  global
        .offset:         72
        .size:           8
        .value_kind:     global_buffer
      - .actual_access:  read_only
        .address_space:  global
        .offset:         80
        .size:           8
        .value_kind:     global_buffer
      - .actual_access:  read_only
        .address_space:  global
        .offset:         88
        .size:           8
        .value_kind:     global_buffer
      - .actual_access:  write_only
        .address_space:  global
        .offset:         96
        .size:           8
        .value_kind:     global_buffer
    .group_segment_fixed_size: 0
    .kernarg_segment_align: 8
    .kernarg_segment_size: 104
    .language:       OpenCL C
    .language_version:
      - 2
      - 0
    .max_flat_workgroup_size: 182
    .name:           fft_rtc_fwd_len1365_factors_13_7_5_3_wgs_182_tpt_91_halfLds_half_op_CI_CI_sbrr_dirReg
    .private_segment_fixed_size: 0
    .sgpr_count:     38
    .sgpr_spill_count: 0
    .symbol:         fft_rtc_fwd_len1365_factors_13_7_5_3_wgs_182_tpt_91_halfLds_half_op_CI_CI_sbrr_dirReg.kd
    .uniform_work_group_size: 1
    .uses_dynamic_stack: false
    .vgpr_count:     105
    .vgpr_spill_count: 0
    .wavefront_size: 64
amdhsa.target:   amdgcn-amd-amdhsa--gfx950
amdhsa.version:
  - 1
  - 2
...

	.end_amdgpu_metadata
